;; amdgpu-corpus repo=ROCm/rocFFT kind=compiled arch=gfx950 opt=O3
	.text
	.amdgcn_target "amdgcn-amd-amdhsa--gfx950"
	.amdhsa_code_object_version 6
	.protected	fft_rtc_fwd_len1190_factors_17_2_5_7_wgs_255_tpt_85_halfLds_dp_ip_CI_unitstride_sbrr_C2R_dirReg ; -- Begin function fft_rtc_fwd_len1190_factors_17_2_5_7_wgs_255_tpt_85_halfLds_dp_ip_CI_unitstride_sbrr_C2R_dirReg
	.globl	fft_rtc_fwd_len1190_factors_17_2_5_7_wgs_255_tpt_85_halfLds_dp_ip_CI_unitstride_sbrr_C2R_dirReg
	.p2align	8
	.type	fft_rtc_fwd_len1190_factors_17_2_5_7_wgs_255_tpt_85_halfLds_dp_ip_CI_unitstride_sbrr_C2R_dirReg,@function
fft_rtc_fwd_len1190_factors_17_2_5_7_wgs_255_tpt_85_halfLds_dp_ip_CI_unitstride_sbrr_C2R_dirReg: ; @fft_rtc_fwd_len1190_factors_17_2_5_7_wgs_255_tpt_85_halfLds_dp_ip_CI_unitstride_sbrr_C2R_dirReg
; %bb.0:
	s_load_dwordx2 s[8:9], s[0:1], 0x50
	s_load_dwordx4 s[4:7], s[0:1], 0x0
	s_load_dwordx2 s[10:11], s[0:1], 0x18
	v_mul_u32_u24_e32 v1, 0x304, v0
	v_lshrrev_b32_e32 v2, 16, v1
	v_mad_u64_u32 v[2:3], s[2:3], s2, 3, v[2:3]
	v_mov_b32_e32 v6, 0
	v_mov_b32_e32 v3, v6
	s_waitcnt lgkmcnt(0)
	v_cmp_lt_u64_e64 s[2:3], s[6:7], 2
	s_and_b64 vcc, exec, s[2:3]
	v_mov_b64_e32 v[4:5], 0
	v_mov_b64_e32 v[10:11], v[2:3]
	s_cbranch_vccnz .LBB0_8
; %bb.1:
	s_load_dwordx2 s[2:3], s[0:1], 0x10
	s_add_u32 s12, s10, 8
	s_addc_u32 s13, s11, 0
	s_mov_b64 s[14:15], 1
	v_mov_b64_e32 v[4:5], 0
	s_waitcnt lgkmcnt(0)
	s_add_u32 s16, s2, 8
	s_addc_u32 s17, s3, 0
	v_mov_b64_e32 v[8:9], v[2:3]
.LBB0_2:                                ; =>This Inner Loop Header: Depth=1
	s_load_dwordx2 s[18:19], s[16:17], 0x0
                                        ; implicit-def: $vgpr10_vgpr11
	s_waitcnt lgkmcnt(0)
	v_or_b32_e32 v7, s19, v9
	v_cmp_ne_u64_e32 vcc, 0, v[6:7]
	s_and_saveexec_b64 s[2:3], vcc
	s_xor_b64 s[20:21], exec, s[2:3]
	s_cbranch_execz .LBB0_4
; %bb.3:                                ;   in Loop: Header=BB0_2 Depth=1
	v_cvt_f32_u32_e32 v1, s18
	v_cvt_f32_u32_e32 v3, s19
	s_sub_u32 s2, 0, s18
	s_subb_u32 s3, 0, s19
	v_fmac_f32_e32 v1, 0x4f800000, v3
	v_rcp_f32_e32 v1, v1
	s_nop 0
	v_mul_f32_e32 v1, 0x5f7ffffc, v1
	v_mul_f32_e32 v3, 0x2f800000, v1
	v_trunc_f32_e32 v3, v3
	v_fmac_f32_e32 v1, 0xcf800000, v3
	v_cvt_u32_f32_e32 v3, v3
	v_cvt_u32_f32_e32 v1, v1
	v_mul_lo_u32 v7, s2, v3
	v_mul_hi_u32 v10, s2, v1
	v_mul_lo_u32 v11, s3, v1
	v_add_u32_e32 v7, v10, v7
	v_mul_lo_u32 v14, s2, v1
	v_add_u32_e32 v7, v7, v11
	v_mul_hi_u32 v10, v1, v14
	v_mul_hi_u32 v13, v1, v7
	v_mul_lo_u32 v12, v1, v7
	v_mov_b32_e32 v11, v6
	v_lshl_add_u64 v[10:11], v[10:11], 0, v[12:13]
	v_mul_hi_u32 v13, v3, v14
	v_mul_lo_u32 v14, v3, v14
	v_add_co_u32_e32 v10, vcc, v10, v14
	v_mul_hi_u32 v12, v3, v7
	s_nop 0
	v_addc_co_u32_e32 v10, vcc, v11, v13, vcc
	v_mov_b32_e32 v11, v6
	s_nop 0
	v_addc_co_u32_e32 v13, vcc, 0, v12, vcc
	v_mul_lo_u32 v12, v3, v7
	v_lshl_add_u64 v[10:11], v[10:11], 0, v[12:13]
	v_add_co_u32_e32 v1, vcc, v1, v10
	v_mul_hi_u32 v10, s2, v1
	s_nop 0
	v_addc_co_u32_e32 v3, vcc, v3, v11, vcc
	v_mul_lo_u32 v7, s2, v3
	v_add_u32_e32 v7, v10, v7
	v_mul_lo_u32 v10, s3, v1
	v_add_u32_e32 v7, v7, v10
	v_mul_lo_u32 v12, s2, v1
	v_mul_hi_u32 v15, v3, v12
	v_mul_lo_u32 v16, v3, v12
	v_mul_hi_u32 v11, v1, v7
	;; [unrolled: 2-line block ×3, first 2 shown]
	v_mov_b32_e32 v13, v6
	v_lshl_add_u64 v[10:11], v[12:13], 0, v[10:11]
	v_add_co_u32_e32 v10, vcc, v10, v16
	v_mul_hi_u32 v14, v3, v7
	s_nop 0
	v_addc_co_u32_e32 v10, vcc, v11, v15, vcc
	v_mul_lo_u32 v12, v3, v7
	s_nop 0
	v_addc_co_u32_e32 v13, vcc, 0, v14, vcc
	v_mov_b32_e32 v11, v6
	v_lshl_add_u64 v[10:11], v[10:11], 0, v[12:13]
	v_add_co_u32_e32 v1, vcc, v1, v10
	v_mul_hi_u32 v12, v8, v1
	s_nop 0
	v_addc_co_u32_e32 v3, vcc, v3, v11, vcc
	v_mad_u64_u32 v[10:11], s[2:3], v8, v3, 0
	v_mov_b32_e32 v13, v6
	v_lshl_add_u64 v[10:11], v[12:13], 0, v[10:11]
	v_mad_u64_u32 v[14:15], s[2:3], v9, v1, 0
	v_add_co_u32_e32 v1, vcc, v10, v14
	v_mad_u64_u32 v[12:13], s[2:3], v9, v3, 0
	s_nop 0
	v_addc_co_u32_e32 v10, vcc, v11, v15, vcc
	v_mov_b32_e32 v11, v6
	s_nop 0
	v_addc_co_u32_e32 v13, vcc, 0, v13, vcc
	v_lshl_add_u64 v[10:11], v[10:11], 0, v[12:13]
	v_mul_lo_u32 v1, s19, v10
	v_mul_lo_u32 v3, s18, v11
	v_mad_u64_u32 v[12:13], s[2:3], s18, v10, 0
	v_add3_u32 v1, v13, v3, v1
	v_sub_u32_e32 v3, v9, v1
	v_mov_b32_e32 v7, s19
	v_sub_co_u32_e32 v16, vcc, v8, v12
	v_lshl_add_u64 v[14:15], v[10:11], 0, 1
	s_nop 0
	v_subb_co_u32_e64 v3, s[2:3], v3, v7, vcc
	v_subrev_co_u32_e64 v7, s[2:3], s18, v16
	v_subb_co_u32_e32 v1, vcc, v9, v1, vcc
	s_nop 0
	v_subbrev_co_u32_e64 v3, s[2:3], 0, v3, s[2:3]
	v_cmp_le_u32_e64 s[2:3], s19, v3
	v_cmp_le_u32_e32 vcc, s19, v1
	s_nop 0
	v_cndmask_b32_e64 v12, 0, -1, s[2:3]
	v_cmp_le_u32_e64 s[2:3], s18, v7
	s_nop 1
	v_cndmask_b32_e64 v7, 0, -1, s[2:3]
	v_cmp_eq_u32_e64 s[2:3], s19, v3
	s_nop 1
	v_cndmask_b32_e64 v3, v12, v7, s[2:3]
	v_lshl_add_u64 v[12:13], v[10:11], 0, 2
	v_cmp_ne_u32_e64 s[2:3], 0, v3
	v_cndmask_b32_e64 v7, 0, -1, vcc
	v_cmp_le_u32_e32 vcc, s18, v16
	v_cndmask_b32_e64 v3, v15, v13, s[2:3]
	s_nop 0
	v_cndmask_b32_e64 v13, 0, -1, vcc
	v_cmp_eq_u32_e32 vcc, s19, v1
	s_nop 1
	v_cndmask_b32_e32 v1, v7, v13, vcc
	v_cmp_ne_u32_e32 vcc, 0, v1
	v_cndmask_b32_e64 v1, v14, v12, s[2:3]
	s_nop 0
	v_cndmask_b32_e32 v11, v11, v3, vcc
	v_cndmask_b32_e32 v10, v10, v1, vcc
.LBB0_4:                                ;   in Loop: Header=BB0_2 Depth=1
	s_andn2_saveexec_b64 s[2:3], s[20:21]
	s_cbranch_execz .LBB0_6
; %bb.5:                                ;   in Loop: Header=BB0_2 Depth=1
	v_cvt_f32_u32_e32 v1, s18
	s_sub_i32 s20, 0, s18
	v_mov_b32_e32 v11, v6
	v_rcp_iflag_f32_e32 v1, v1
	s_nop 0
	v_mul_f32_e32 v1, 0x4f7ffffe, v1
	v_cvt_u32_f32_e32 v1, v1
	v_mul_lo_u32 v3, s20, v1
	v_mul_hi_u32 v3, v1, v3
	v_add_u32_e32 v1, v1, v3
	v_mul_hi_u32 v1, v8, v1
	v_mul_lo_u32 v3, v1, s18
	v_sub_u32_e32 v3, v8, v3
	v_add_u32_e32 v7, 1, v1
	v_subrev_u32_e32 v10, s18, v3
	v_cmp_le_u32_e32 vcc, s18, v3
	s_nop 1
	v_cndmask_b32_e32 v3, v3, v10, vcc
	v_cndmask_b32_e32 v1, v1, v7, vcc
	v_add_u32_e32 v7, 1, v1
	v_cmp_le_u32_e32 vcc, s18, v3
	s_nop 1
	v_cndmask_b32_e32 v10, v1, v7, vcc
.LBB0_6:                                ;   in Loop: Header=BB0_2 Depth=1
	s_or_b64 exec, exec, s[2:3]
	v_mad_u64_u32 v[12:13], s[2:3], v10, s18, 0
	s_load_dwordx2 s[2:3], s[12:13], 0x0
	s_add_u32 s14, s14, 1
	v_mul_lo_u32 v1, v11, s18
	v_mul_lo_u32 v3, v10, s19
	s_addc_u32 s15, s15, 0
	v_add3_u32 v1, v13, v3, v1
	v_sub_co_u32_e32 v3, vcc, v8, v12
	s_add_u32 s12, s12, 8
	s_nop 0
	v_subb_co_u32_e32 v1, vcc, v9, v1, vcc
	s_addc_u32 s13, s13, 0
	v_mov_b64_e32 v[8:9], s[6:7]
	s_waitcnt lgkmcnt(0)
	v_mul_lo_u32 v1, s2, v1
	v_mul_lo_u32 v7, s3, v3
	v_mad_u64_u32 v[4:5], s[2:3], s2, v3, v[4:5]
	s_add_u32 s16, s16, 8
	v_cmp_ge_u64_e32 vcc, s[14:15], v[8:9]
	v_add3_u32 v5, v7, v5, v1
	s_addc_u32 s17, s17, 0
	s_cbranch_vccnz .LBB0_8
; %bb.7:                                ;   in Loop: Header=BB0_2 Depth=1
	v_mov_b64_e32 v[8:9], v[10:11]
	s_branch .LBB0_2
.LBB0_8:
	s_lshl_b64 s[2:3], s[6:7], 3
	s_add_u32 s2, s10, s2
	s_addc_u32 s3, s11, s3
	s_load_dwordx2 s[6:7], s[2:3], 0x0
	s_load_dwordx2 s[10:11], s[0:1], 0x20
	s_mov_b32 s2, 0x3030304
	s_waitcnt lgkmcnt(0)
	v_mad_u64_u32 v[4:5], s[0:1], s6, v10, v[4:5]
	v_mul_lo_u32 v1, s6, v11
	v_mul_lo_u32 v3, s7, v10
	s_mov_b32 s0, 0xaaaaaaab
	v_add3_u32 v5, v3, v5, v1
	v_mul_hi_u32 v1, v2, s0
	v_lshrrev_b32_e32 v1, 1, v1
	v_lshl_add_u32 v1, v1, 1, v1
	v_sub_u32_e32 v1, v2, v1
	v_mul_u32_u24_e32 v14, 0x4a7, v1
	v_mul_hi_u32 v1, v0, s2
	v_mul_u32_u24_e32 v1, 0x55, v1
	v_cmp_gt_u64_e64 s[0:1], s[10:11], v[10:11]
	v_sub_u32_e32 v122, v0, v1
	v_lshl_add_u64 v[120:121], v[4:5], 4, s[8:9]
	v_lshlrev_b32_e32 v220, 4, v14
	s_and_saveexec_b64 s[2:3], s[0:1]
	s_cbranch_execz .LBB0_12
; %bb.9:
	v_mov_b32_e32 v123, 0
	v_lshl_add_u64 v[0:1], v[122:123], 4, v[120:121]
	v_add_co_u32_e32 v44, vcc, 0x1000, v0
	global_load_dwordx4 v[2:5], v[0:1], off
	global_load_dwordx4 v[6:9], v[0:1], off offset:1360
	global_load_dwordx4 v[10:13], v[0:1], off offset:2720
	;; [unrolled: 1-line block ×3, first 2 shown]
	v_addc_co_u32_e32 v45, vcc, 0, v1, vcc
	v_add_co_u32_e32 v46, vcc, 0x2000, v0
	global_load_dwordx4 v[20:23], v[44:45], off offset:1344
	global_load_dwordx4 v[24:27], v[44:45], off offset:2704
	v_addc_co_u32_e32 v47, vcc, 0, v1, vcc
	v_add_co_u32_e32 v60, vcc, 0x3000, v0
	global_load_dwordx4 v[28:31], v[44:45], off offset:4064
	global_load_dwordx4 v[32:35], v[46:47], off offset:1328
	global_load_dwordx4 v[36:39], v[46:47], off offset:2688
	global_load_dwordx4 v[40:43], v[46:47], off offset:4048
	v_addc_co_u32_e32 v61, vcc, 0, v1, vcc
	v_add_co_u32_e32 v0, vcc, 0x4000, v0
	global_load_dwordx4 v[44:47], v[60:61], off offset:1312
	global_load_dwordx4 v[48:51], v[60:61], off offset:2672
	v_addc_co_u32_e32 v1, vcc, 0, v1, vcc
	global_load_dwordx4 v[52:55], v[60:61], off offset:4032
	global_load_dwordx4 v[56:59], v[0:1], off offset:1296
	v_lshlrev_b32_e32 v0, 4, v122
	s_movk_i32 s6, 0x54
	v_add3_u32 v0, 0, v220, v0
	v_cmp_eq_u32_e32 vcc, s6, v122
	s_waitcnt vmcnt(13)
	ds_write_b128 v0, v[2:5]
	s_waitcnt vmcnt(12)
	ds_write_b128 v0, v[6:9] offset:1360
	s_waitcnt vmcnt(11)
	ds_write_b128 v0, v[10:13] offset:2720
	;; [unrolled: 2-line block ×13, first 2 shown]
	s_and_saveexec_b64 s[6:7], vcc
	s_cbranch_execz .LBB0_11
; %bb.10:
	v_add_co_u32_e32 v2, vcc, 0x4000, v120
	v_mov_b32_e32 v122, 0x54
	s_nop 0
	v_addc_co_u32_e32 v3, vcc, 0, v121, vcc
	global_load_dwordx4 v[2:5], v[2:3], off offset:2656
	s_waitcnt vmcnt(0)
	ds_write_b128 v0, v[2:5] offset:17696
.LBB0_11:
	s_or_b64 exec, exec, s[6:7]
.LBB0_12:
	s_or_b64 exec, exec, s[2:3]
	v_lshl_add_u32 v218, v14, 4, 0
	v_lshlrev_b32_e32 v0, 4, v122
	v_add_u32_e32 v219, v218, v0
	s_waitcnt lgkmcnt(0)
	s_barrier
	v_sub_u32_e32 v15, v218, v0
	ds_read_b64 v[2:3], v219
	ds_read_b64 v[8:9], v15 offset:19040
	s_add_u32 s2, s4, 0x4950
	s_addc_u32 s3, s5, 0
	v_cmp_ne_u32_e32 vcc, 0, v122
                                        ; implicit-def: $vgpr0_vgpr1
	s_waitcnt lgkmcnt(0)
	v_add_f64 v[4:5], v[2:3], v[8:9]
	v_add_f64 v[6:7], v[2:3], -v[8:9]
	s_and_saveexec_b64 s[6:7], vcc
	s_xor_b64 s[6:7], exec, s[6:7]
	s_cbranch_execz .LBB0_14
; %bb.13:
	v_mov_b32_e32 v123, 0
	v_lshl_add_u64 v[0:1], v[122:123], 4, s[2:3]
	global_load_dwordx4 v[10:13], v[0:1], off
	ds_read_b64 v[0:1], v15 offset:19048
	ds_read_b64 v[4:5], v219 offset:8
	v_add_f64 v[16:17], v[2:3], v[8:9]
	v_add_f64 v[8:9], v[2:3], -v[8:9]
	s_waitcnt lgkmcnt(0)
	v_add_f64 v[18:19], v[0:1], v[4:5]
	v_add_f64 v[2:3], v[4:5], -v[0:1]
	s_waitcnt vmcnt(0)
	v_fma_f64 v[6:7], v[18:19], v[12:13], v[2:3]
	v_fma_f64 v[0:1], -v[8:9], v[12:13], v[16:17]
	v_fma_f64 v[2:3], v[18:19], v[12:13], -v[2:3]
	v_fma_f64 v[4:5], v[8:9], v[12:13], v[16:17]
	v_fmac_f64_e32 v[0:1], v[18:19], v[10:11]
	v_fmac_f64_e32 v[2:3], v[8:9], v[10:11]
	v_fma_f64 v[4:5], -v[18:19], v[10:11], v[4:5]
	v_fmac_f64_e32 v[6:7], v[8:9], v[10:11]
	ds_write_b128 v15, v[0:3] offset:19040
	v_mov_b64_e32 v[0:1], v[122:123]
.LBB0_14:
	s_andn2_saveexec_b64 s[6:7], s[6:7]
	s_cbranch_execz .LBB0_16
; %bb.15:
	ds_read_b128 v[0:3], v218 offset:9520
	s_waitcnt lgkmcnt(0)
	v_add_f64 v[0:1], v[0:1], v[0:1]
	v_mul_f64 v[2:3], v[2:3], -2.0
	ds_write_b128 v218, v[0:3] offset:9520
	v_mov_b64_e32 v[0:1], 0
.LBB0_16:
	s_or_b64 exec, exec, s[6:7]
	v_lshl_add_u64 v[12:13], v[0:1], 4, s[2:3]
	global_load_dwordx4 v[0:3], v[12:13], off offset:1360
	global_load_dwordx4 v[8:11], v[12:13], off offset:2720
	;; [unrolled: 1-line block ×3, first 2 shown]
	v_add_u32_e32 v124, 0x154, v122
	v_mov_b32_e32 v125, 0
	v_lshl_add_u64 v[20:21], v[124:125], 4, s[2:3]
	global_load_dwordx4 v[20:23], v[20:21], off
	v_add_u32_e32 v126, 0x1a9, v122
	v_mov_b32_e32 v127, v125
	ds_write_b128 v219, v[4:7]
	v_lshl_add_u64 v[28:29], v[126:127], 4, s[2:3]
	ds_read_b128 v[4:7], v219 offset:1360
	ds_read_b128 v[24:27], v15 offset:17680
	global_load_dwordx4 v[28:31], v[28:29], off
	s_movk_i32 s6, 0x1000
	v_add_co_u32_e32 v12, vcc, s6, v12
	s_waitcnt lgkmcnt(0)
	v_add_f64 v[32:33], v[4:5], v[24:25]
	v_add_f64 v[34:35], v[26:27], v[6:7]
	v_add_f64 v[36:37], v[4:5], -v[24:25]
	v_add_f64 v[6:7], v[6:7], -v[26:27]
	v_addc_co_u32_e32 v13, vcc, 0, v13, vcc
	s_mov_b32 s6, 0x7c9e640b
	s_mov_b32 s2, 0x2b2883cd
	;; [unrolled: 1-line block ×32, first 2 shown]
	s_movk_i32 s16, 0x46
	v_cmp_gt_u32_e32 vcc, s16, v122
	s_waitcnt vmcnt(4)
	v_fma_f64 v[38:39], v[36:37], v[2:3], v[32:33]
	v_fma_f64 v[4:5], v[34:35], v[2:3], v[6:7]
	v_fma_f64 v[24:25], -v[36:37], v[2:3], v[32:33]
	v_fma_f64 v[26:27], v[34:35], v[2:3], -v[6:7]
	v_fma_f64 v[2:3], -v[34:35], v[0:1], v[38:39]
	v_fmac_f64_e32 v[4:5], v[36:37], v[0:1]
	v_fmac_f64_e32 v[24:25], v[34:35], v[0:1]
	v_fmac_f64_e32 v[26:27], v[36:37], v[0:1]
	ds_write_b128 v219, v[2:5] offset:1360
	ds_write_b128 v15, v[24:27] offset:17680
	ds_read_b128 v[0:3], v219 offset:2720
	ds_read_b128 v[4:7], v15 offset:16320
	global_load_dwordx4 v[24:27], v[12:13], off offset:4064
	s_waitcnt lgkmcnt(0)
	v_add_f64 v[12:13], v[0:1], v[4:5]
	v_add_f64 v[32:33], v[6:7], v[2:3]
	v_add_f64 v[34:35], v[0:1], -v[4:5]
	v_add_f64 v[0:1], v[2:3], -v[6:7]
	s_waitcnt vmcnt(4)
	v_fma_f64 v[36:37], v[34:35], v[10:11], v[12:13]
	v_fma_f64 v[2:3], v[32:33], v[10:11], v[0:1]
	v_fma_f64 v[4:5], -v[34:35], v[10:11], v[12:13]
	v_fma_f64 v[6:7], v[32:33], v[10:11], -v[0:1]
	v_fma_f64 v[0:1], -v[32:33], v[8:9], v[36:37]
	v_fmac_f64_e32 v[2:3], v[34:35], v[8:9]
	v_fmac_f64_e32 v[4:5], v[32:33], v[8:9]
	;; [unrolled: 1-line block ×3, first 2 shown]
	ds_write_b128 v219, v[0:3] offset:2720
	ds_write_b128 v15, v[4:7] offset:16320
	ds_read_b128 v[0:3], v219 offset:4080
	ds_read_b128 v[4:7], v15 offset:14960
	v_lshl_add_u32 v34, v124, 4, v218
	s_waitcnt lgkmcnt(0)
	v_add_f64 v[8:9], v[0:1], v[4:5]
	v_add_f64 v[10:11], v[6:7], v[2:3]
	v_add_f64 v[12:13], v[0:1], -v[4:5]
	v_add_f64 v[0:1], v[2:3], -v[6:7]
	s_waitcnt vmcnt(3)
	v_fma_f64 v[32:33], v[12:13], v[18:19], v[8:9]
	v_fma_f64 v[2:3], v[10:11], v[18:19], v[0:1]
	v_fma_f64 v[4:5], -v[12:13], v[18:19], v[8:9]
	v_fma_f64 v[6:7], v[10:11], v[18:19], -v[0:1]
	v_fma_f64 v[0:1], -v[10:11], v[16:17], v[32:33]
	v_fmac_f64_e32 v[2:3], v[12:13], v[16:17]
	v_fmac_f64_e32 v[4:5], v[10:11], v[16:17]
	;; [unrolled: 1-line block ×3, first 2 shown]
	ds_write_b128 v219, v[0:3] offset:4080
	ds_write_b128 v15, v[4:7] offset:14960
	ds_read_b128 v[0:3], v34
	ds_read_b128 v[4:7], v15 offset:13600
	v_lshl_add_u32 v18, v126, 4, v218
	s_waitcnt lgkmcnt(0)
	v_add_f64 v[8:9], v[0:1], v[4:5]
	v_add_f64 v[10:11], v[6:7], v[2:3]
	v_add_f64 v[12:13], v[0:1], -v[4:5]
	v_add_f64 v[0:1], v[2:3], -v[6:7]
	s_waitcnt vmcnt(2)
	v_fma_f64 v[16:17], v[12:13], v[22:23], v[8:9]
	v_fma_f64 v[2:3], v[10:11], v[22:23], v[0:1]
	v_fma_f64 v[4:5], -v[12:13], v[22:23], v[8:9]
	v_fma_f64 v[6:7], v[10:11], v[22:23], -v[0:1]
	v_fma_f64 v[0:1], -v[10:11], v[20:21], v[16:17]
	v_fmac_f64_e32 v[2:3], v[12:13], v[20:21]
	v_fmac_f64_e32 v[4:5], v[10:11], v[20:21]
	;; [unrolled: 1-line block ×3, first 2 shown]
	ds_write_b128 v34, v[0:3]
	ds_write_b128 v15, v[4:7] offset:13600
	ds_read_b128 v[0:3], v18
	ds_read_b128 v[4:7], v15 offset:12240
	s_waitcnt lgkmcnt(0)
	v_add_f64 v[8:9], v[0:1], v[4:5]
	v_add_f64 v[10:11], v[6:7], v[2:3]
	v_add_f64 v[12:13], v[0:1], -v[4:5]
	v_add_f64 v[0:1], v[2:3], -v[6:7]
	s_waitcnt vmcnt(1)
	v_fma_f64 v[16:17], v[12:13], v[30:31], v[8:9]
	v_fma_f64 v[2:3], v[10:11], v[30:31], v[0:1]
	v_fma_f64 v[4:5], -v[12:13], v[30:31], v[8:9]
	v_fma_f64 v[6:7], v[10:11], v[30:31], -v[0:1]
	v_fma_f64 v[0:1], -v[10:11], v[28:29], v[16:17]
	v_fmac_f64_e32 v[2:3], v[12:13], v[28:29]
	v_fmac_f64_e32 v[4:5], v[10:11], v[28:29]
	;; [unrolled: 1-line block ×3, first 2 shown]
	ds_write_b128 v18, v[0:3]
	ds_write_b128 v15, v[4:7] offset:12240
	ds_read_b128 v[0:3], v219 offset:8160
	ds_read_b128 v[4:7], v15 offset:10880
	v_lshl_add_u32 v8, v122, 4, 0
	v_lshl_add_u32 v123, v14, 4, v8
	s_waitcnt lgkmcnt(0)
	v_add_f64 v[8:9], v[0:1], v[4:5]
	v_add_f64 v[10:11], v[6:7], v[2:3]
	v_add_f64 v[12:13], v[0:1], -v[4:5]
	v_add_f64 v[0:1], v[2:3], -v[6:7]
	s_waitcnt vmcnt(0)
	v_fma_f64 v[16:17], v[12:13], v[26:27], v[8:9]
	v_fma_f64 v[2:3], v[10:11], v[26:27], v[0:1]
	v_fma_f64 v[4:5], -v[12:13], v[26:27], v[8:9]
	v_fma_f64 v[6:7], v[10:11], v[26:27], -v[0:1]
	v_fma_f64 v[0:1], -v[10:11], v[24:25], v[16:17]
	v_fmac_f64_e32 v[2:3], v[12:13], v[24:25]
	v_fmac_f64_e32 v[4:5], v[10:11], v[24:25]
	;; [unrolled: 1-line block ×3, first 2 shown]
	ds_write_b128 v219, v[0:3] offset:8160
	ds_write_b128 v15, v[4:7] offset:10880
	s_waitcnt lgkmcnt(0)
	s_barrier
	s_barrier
	ds_read_b128 v[4:7], v123 offset:17920
	ds_read_b128 v[8:11], v123 offset:1120
	ds_read_b128 v[12:15], v219
	ds_read_b128 v[16:19], v123 offset:2240
	ds_read_b128 v[20:23], v123 offset:3360
	;; [unrolled: 1-line block ×4, first 2 shown]
	s_waitcnt lgkmcnt(5)
	v_add_f64 v[132:133], v[10:11], -v[6:7]
	v_add_f64 v[128:129], v[8:9], v[4:5]
	v_add_f64 v[130:131], v[8:9], -v[4:5]
	v_mul_f64 v[112:113], v[132:133], s[6:7]
	s_waitcnt lgkmcnt(1)
	v_add_f64 v[142:143], v[18:19], -v[26:27]
	v_add_f64 v[138:139], v[10:11], v[6:7]
	v_mul_f64 v[114:115], v[130:131], s[6:7]
	v_fma_f64 v[0:1], s[2:3], v[128:129], v[112:113]
	v_add_f64 v[134:135], v[16:17], v[24:25]
	v_mul_f64 v[116:117], v[142:143], s[12:13]
	v_add_f64 v[140:141], v[16:17], -v[24:25]
	v_add_f64 v[0:1], v[12:13], v[0:1]
	v_fma_f64 v[2:3], v[138:139], s[2:3], -v[114:115]
	v_add_f64 v[150:151], v[18:19], v[26:27]
	v_fma_f64 v[32:33], s[8:9], v[134:135], v[116:117]
	v_mul_f64 v[118:119], v[140:141], s[12:13]
	s_waitcnt lgkmcnt(0)
	v_add_f64 v[146:147], v[22:23], -v[30:31]
	v_add_f64 v[2:3], v[14:15], v[2:3]
	v_add_f64 v[0:1], v[32:33], v[0:1]
	v_fma_f64 v[32:33], v[150:151], s[8:9], -v[118:119]
	v_add_f64 v[136:137], v[20:21], v[28:29]
	v_mul_f64 v[182:183], v[146:147], s[20:21]
	v_add_f64 v[144:145], v[20:21], -v[28:29]
	v_add_f64 v[2:3], v[32:33], v[2:3]
	v_fma_f64 v[32:33], s[10:11], v[136:137], v[182:183]
	v_add_f64 v[156:157], v[22:23], v[30:31]
	v_mul_f64 v[190:191], v[144:145], s[20:21]
	v_add_f64 v[0:1], v[32:33], v[0:1]
	v_fma_f64 v[32:33], v[156:157], s[10:11], -v[190:191]
	v_add_f64 v[2:3], v[32:33], v[2:3]
	ds_read_b128 v[32:35], v123 offset:14560
	ds_read_b128 v[36:39], v123 offset:4480
	;; [unrolled: 1-line block ×4, first 2 shown]
	s_waitcnt lgkmcnt(2)
	v_add_f64 v[158:159], v[38:39], -v[34:35]
	v_add_f64 v[148:149], v[36:37], v[32:33]
	v_mul_f64 v[194:195], v[158:159], s[24:25]
	v_add_f64 v[154:155], v[36:37], -v[32:33]
	v_fma_f64 v[48:49], s[14:15], v[148:149], v[194:195]
	v_add_f64 v[166:167], v[38:39], v[34:35]
	v_mul_f64 v[200:201], v[154:155], s[24:25]
	s_waitcnt lgkmcnt(0)
	v_add_f64 v[162:163], v[42:43], -v[46:47]
	v_add_f64 v[0:1], v[48:49], v[0:1]
	v_fma_f64 v[48:49], v[166:167], s[14:15], -v[200:201]
	v_add_f64 v[152:153], v[40:41], v[44:45]
	v_mul_f64 v[198:199], v[162:163], s[30:31]
	v_add_f64 v[160:161], v[40:41], -v[44:45]
	v_add_f64 v[2:3], v[48:49], v[2:3]
	v_fma_f64 v[48:49], s[18:19], v[152:153], v[198:199]
	v_add_f64 v[172:173], v[42:43], v[46:47]
	v_mul_f64 v[202:203], v[160:161], s[30:31]
	v_add_f64 v[0:1], v[48:49], v[0:1]
	v_fma_f64 v[48:49], v[172:173], s[18:19], -v[202:203]
	v_add_f64 v[2:3], v[48:49], v[2:3]
	ds_read_b128 v[48:51], v123 offset:12320
	ds_read_b128 v[52:55], v123 offset:6720
	;; [unrolled: 1-line block ×4, first 2 shown]
	s_waitcnt lgkmcnt(2)
	v_add_f64 v[176:177], v[54:55], -v[50:51]
	v_add_f64 v[164:165], v[52:53], v[48:49]
	v_mul_f64 v[204:205], v[176:177], s[26:27]
	v_add_f64 v[170:171], v[52:53], -v[48:49]
	v_fma_f64 v[64:65], s[22:23], v[164:165], v[204:205]
	v_add_f64 v[184:185], v[54:55], v[50:51]
	v_mul_f64 v[208:209], v[170:171], s[26:27]
	s_waitcnt lgkmcnt(0)
	v_add_f64 v[180:181], v[58:59], -v[62:63]
	v_add_f64 v[0:1], v[64:65], v[0:1]
	v_fma_f64 v[64:65], v[184:185], s[22:23], -v[208:209]
	v_add_f64 v[168:169], v[56:57], v[60:61]
	v_mul_f64 v[206:207], v[180:181], s[34:35]
	v_add_f64 v[178:179], v[56:57], -v[60:61]
	v_add_f64 v[2:3], v[64:65], v[2:3]
	v_fma_f64 v[64:65], s[28:29], v[168:169], v[206:207]
	v_add_f64 v[192:193], v[58:59], v[62:63]
	v_mul_f64 v[210:211], v[178:179], s[34:35]
	v_add_f64 v[0:1], v[64:65], v[0:1]
	v_fma_f64 v[64:65], v[192:193], s[28:29], -v[210:211]
	v_add_f64 v[2:3], v[64:65], v[2:3]
	ds_read_b128 v[64:67], v123 offset:8960
	ds_read_b128 v[68:71], v123 offset:10080
	s_waitcnt lgkmcnt(0)
	s_barrier
	v_add_f64 v[188:189], v[66:67], -v[70:71]
	v_add_f64 v[174:175], v[64:65], v[68:69]
	v_mul_f64 v[212:213], v[188:189], s[38:39]
	v_add_f64 v[186:187], v[64:65], -v[68:69]
	v_fma_f64 v[72:73], s[36:37], v[174:175], v[212:213]
	v_add_f64 v[196:197], v[66:67], v[70:71]
	v_mul_f64 v[216:217], v[186:187], s[38:39]
	v_add_f64 v[0:1], v[72:73], v[0:1]
	v_fma_f64 v[72:73], v[196:197], s[36:37], -v[216:217]
	v_add_f64 v[2:3], v[72:73], v[2:3]
	s_and_saveexec_b64 s[16:17], vcc
	s_cbranch_execz .LBB0_18
; %bb.17:
	v_mul_f64 v[100:101], v[138:139], s[10:11]
	s_mov_b32 s47, 0xbfc7851a
	s_mov_b32 s46, s20
	v_mul_f64 v[96:97], v[150:151], s[22:23]
	v_fma_f64 v[102:103], s[20:21], v[130:131], v[100:101]
	s_mov_b32 s55, 0x3fd71e95
	s_mov_b32 s54, s26
	v_mul_f64 v[228:229], v[132:133], s[46:47]
	v_mul_f64 v[92:93], v[156:157], s[36:37]
	s_mov_b32 s49, 0x3fe0d888
	s_mov_b32 s48, s38
	v_fma_f64 v[98:99], s[26:27], v[140:141], v[96:97]
	v_add_f64 v[102:103], v[14:15], v[102:103]
	v_mul_f64 v[224:225], v[142:143], s[54:55]
	v_fma_f64 v[230:231], s[10:11], v[128:129], v[228:229]
	v_mul_f64 v[88:89], v[166:167], s[18:19]
	s_mov_b32 s41, 0xbfe58eea
	s_mov_b32 s40, s30
	v_fma_f64 v[94:95], s[48:49], v[144:145], v[92:93]
	v_add_f64 v[98:99], v[98:99], v[102:103]
	v_mul_f64 v[110:111], v[146:147], s[38:39]
	v_fma_f64 v[226:227], s[22:23], v[134:135], v[224:225]
	v_add_f64 v[230:231], v[12:13], v[230:231]
	v_mul_f64 v[84:85], v[172:173], s[8:9]
	s_mov_b32 s45, 0x3fe9895b
	s_mov_b32 s44, s12
	v_fma_f64 v[90:91], s[40:41], v[154:155], v[88:89]
	v_add_f64 v[94:95], v[94:95], v[98:99]
	v_mul_f64 v[106:107], v[158:159], s[30:31]
	v_fma_f64 v[222:223], s[36:37], v[136:137], v[110:111]
	v_add_f64 v[226:227], v[226:227], v[230:231]
	v_mul_f64 v[80:81], v[184:185], s[2:3]
	v_fma_f64 v[86:87], s[44:45], v[160:161], v[84:85]
	v_add_f64 v[90:91], v[90:91], v[94:95]
	s_mov_b32 s53, 0x3feca52d
	s_mov_b32 s52, s6
	v_mul_f64 v[102:103], v[162:163], s[12:13]
	v_fma_f64 v[108:109], s[18:19], v[148:149], v[106:107]
	v_add_f64 v[222:223], v[222:223], v[226:227]
	v_mul_f64 v[78:79], v[192:193], s[14:15]
	v_fma_f64 v[82:83], s[6:7], v[170:171], v[80:81]
	v_add_f64 v[86:87], v[86:87], v[90:91]
	s_mov_b32 s43, 0xbfeec746
	s_mov_b32 s42, s24
	;; [unrolled: 8-line block ×3, first 2 shown]
	v_mul_f64 v[86:87], v[180:181], s[42:43]
	v_fma_f64 v[98:99], s[2:3], v[164:165], v[94:95]
	v_add_f64 v[104:105], v[104:105], v[108:109]
	v_fma_f64 v[72:73], s[34:35], v[186:187], v[76:77]
	v_add_f64 v[74:75], v[74:75], v[82:83]
	v_mul_f64 v[82:83], v[188:189], s[50:51]
	v_fma_f64 v[90:91], s[14:15], v[168:169], v[86:87]
	v_add_f64 v[98:99], v[98:99], v[104:105]
	v_add_f64 v[74:75], v[72:73], v[74:75]
	v_fma_f64 v[72:73], s[28:29], v[174:175], v[82:83]
	v_add_f64 v[90:91], v[90:91], v[98:99]
	v_fmac_f64_e32 v[100:101], s[46:47], v[130:131]
	v_add_f64 v[72:73], v[72:73], v[90:91]
	v_fmac_f64_e32 v[96:97], s[54:55], v[140:141]
	v_add_f64 v[90:91], v[14:15], v[100:101]
	v_fmac_f64_e32 v[92:93], s[38:39], v[144:145]
	v_add_f64 v[90:91], v[96:97], v[90:91]
	v_fmac_f64_e32 v[88:89], s[30:31], v[154:155]
	v_add_f64 v[90:91], v[92:93], v[90:91]
	v_fmac_f64_e32 v[84:85], s[12:13], v[160:161]
	v_add_f64 v[88:89], v[88:89], v[90:91]
	v_fmac_f64_e32 v[80:81], s[52:53], v[170:171]
	v_add_f64 v[84:85], v[84:85], v[88:89]
	v_fma_f64 v[92:93], v[128:129], s[10:11], -v[228:229]
	v_mul_f64 v[108:109], v[138:139], s[36:37]
	v_fmac_f64_e32 v[78:79], s[42:43], v[178:179]
	v_add_f64 v[80:81], v[80:81], v[84:85]
	v_fma_f64 v[88:89], v[136:137], s[36:37], -v[110:111]
	v_fma_f64 v[90:91], v[134:135], s[22:23], -v[224:225]
	v_add_f64 v[92:93], v[12:13], v[92:93]
	v_mul_f64 v[104:105], v[150:151], s[2:3]
	v_fma_f64 v[110:111], s[48:49], v[130:131], v[108:109]
	v_mul_f64 v[236:237], v[132:133], s[38:39]
	v_add_f64 v[78:79], v[78:79], v[80:81]
	v_fma_f64 v[80:81], v[168:169], s[14:15], -v[86:87]
	v_fma_f64 v[86:87], v[148:149], s[18:19], -v[106:107]
	v_add_f64 v[90:91], v[90:91], v[92:93]
	v_mul_f64 v[100:101], v[156:157], s[28:29]
	v_fma_f64 v[106:107], s[6:7], v[140:141], v[104:105]
	v_add_f64 v[110:111], v[14:15], v[110:111]
	v_mul_f64 v[232:233], v[142:143], s[52:53]
	v_fma_f64 v[238:239], s[36:37], v[128:129], v[236:237]
	v_fma_f64 v[84:85], v[152:153], s[8:9], -v[102:103]
	v_add_f64 v[88:89], v[88:89], v[90:91]
	v_mul_f64 v[96:97], v[166:167], s[8:9]
	v_fma_f64 v[102:103], s[50:51], v[144:145], v[100:101]
	v_add_f64 v[106:107], v[106:107], v[110:111]
	v_mul_f64 v[228:229], v[146:147], s[34:35]
	v_fma_f64 v[234:235], s[2:3], v[134:135], v[232:233]
	v_add_f64 v[238:239], v[12:13], v[238:239]
	v_fmac_f64_e32 v[76:77], s[50:51], v[186:187]
	v_add_f64 v[86:87], v[86:87], v[88:89]
	v_mul_f64 v[92:93], v[172:173], s[22:23]
	v_fma_f64 v[98:99], s[12:13], v[154:155], v[96:97]
	v_add_f64 v[102:103], v[102:103], v[106:107]
	v_mul_f64 v[224:225], v[158:159], s[44:45]
	v_fma_f64 v[230:231], s[28:29], v[136:137], v[228:229]
	v_add_f64 v[234:235], v[234:235], v[238:239]
	v_add_f64 v[78:79], v[76:77], v[78:79]
	v_fma_f64 v[76:77], v[174:175], s[28:29], -v[82:83]
	v_fma_f64 v[82:83], v[164:165], s[2:3], -v[94:95]
	v_add_f64 v[84:85], v[84:85], v[86:87]
	v_mul_f64 v[88:89], v[184:185], s[10:11]
	v_fma_f64 v[94:95], s[54:55], v[160:161], v[92:93]
	v_add_f64 v[98:99], v[98:99], v[102:103]
	v_mul_f64 v[110:111], v[162:163], s[26:27]
	v_fma_f64 v[226:227], s[8:9], v[148:149], v[224:225]
	v_add_f64 v[230:231], v[230:231], v[234:235]
	v_add_f64 v[82:83], v[82:83], v[84:85]
	v_mul_f64 v[86:87], v[192:193], s[18:19]
	v_fma_f64 v[90:91], s[20:21], v[170:171], v[88:89]
	v_add_f64 v[94:95], v[94:95], v[98:99]
	v_mul_f64 v[102:103], v[176:177], s[46:47]
	v_fma_f64 v[222:223], s[22:23], v[152:153], v[110:111]
	v_add_f64 v[226:227], v[226:227], v[230:231]
	;; [unrolled: 7-line block ×3, first 2 shown]
	v_add_f64 v[76:77], v[76:77], v[80:81]
	v_fma_f64 v[80:81], s[24:25], v[186:187], v[84:85]
	v_add_f64 v[82:83], v[82:83], v[90:91]
	v_mul_f64 v[90:91], v[188:189], s[42:43]
	v_fma_f64 v[98:99], s[18:19], v[168:169], v[94:95]
	v_add_f64 v[106:107], v[106:107], v[222:223]
	v_add_f64 v[82:83], v[80:81], v[82:83]
	v_fma_f64 v[80:81], s[14:15], v[174:175], v[90:91]
	v_add_f64 v[98:99], v[98:99], v[106:107]
	v_fmac_f64_e32 v[108:109], s[38:39], v[130:131]
	v_add_f64 v[80:81], v[80:81], v[98:99]
	v_fmac_f64_e32 v[104:105], s[52:53], v[140:141]
	;; [unrolled: 2-line block ×6, first 2 shown]
	v_add_f64 v[92:93], v[92:93], v[96:97]
	v_fma_f64 v[100:101], v[128:129], s[36:37], -v[236:237]
	v_mul_f64 v[226:227], v[138:139], s[8:9]
	v_fmac_f64_e32 v[86:87], s[30:31], v[178:179]
	v_add_f64 v[88:89], v[88:89], v[92:93]
	v_fma_f64 v[96:97], v[136:137], s[28:29], -v[228:229]
	v_fma_f64 v[98:99], v[134:135], s[2:3], -v[232:233]
	v_add_f64 v[100:101], v[12:13], v[100:101]
	v_mul_f64 v[222:223], v[150:151], s[14:15]
	v_fma_f64 v[228:229], s[44:45], v[130:131], v[226:227]
	v_mul_f64 v[244:245], v[132:133], s[12:13]
	v_add_f64 v[86:87], v[86:87], v[88:89]
	v_fma_f64 v[88:89], v[168:169], s[18:19], -v[94:95]
	v_fma_f64 v[94:95], v[148:149], s[8:9], -v[224:225]
	v_add_f64 v[98:99], v[98:99], v[100:101]
	v_mul_f64 v[108:109], v[156:157], s[22:23]
	v_fma_f64 v[224:225], s[42:43], v[140:141], v[222:223]
	v_add_f64 v[228:229], v[14:15], v[228:229]
	v_mul_f64 v[240:241], v[142:143], s[24:25]
	v_fma_f64 v[246:247], s[8:9], v[128:129], v[244:245]
	v_fma_f64 v[92:93], v[152:153], s[22:23], -v[110:111]
	v_add_f64 v[96:97], v[96:97], v[98:99]
	v_mul_f64 v[104:105], v[166:167], s[36:37]
	v_fma_f64 v[110:111], s[54:55], v[144:145], v[108:109]
	v_add_f64 v[224:225], v[224:225], v[228:229]
	v_mul_f64 v[236:237], v[146:147], s[26:27]
	v_fma_f64 v[242:243], s[14:15], v[134:135], v[240:241]
	v_add_f64 v[246:247], v[12:13], v[246:247]
	v_fmac_f64_e32 v[84:85], s[42:43], v[186:187]
	v_add_f64 v[94:95], v[94:95], v[96:97]
	v_mul_f64 v[100:101], v[172:173], s[28:29]
	v_fma_f64 v[106:107], s[48:49], v[154:155], v[104:105]
	v_add_f64 v[110:111], v[110:111], v[224:225]
	v_mul_f64 v[232:233], v[158:159], s[38:39]
	v_fma_f64 v[238:239], s[22:23], v[136:137], v[236:237]
	v_add_f64 v[242:243], v[242:243], v[246:247]
	v_add_f64 v[86:87], v[84:85], v[86:87]
	v_fma_f64 v[84:85], v[174:175], s[14:15], -v[90:91]
	v_fma_f64 v[90:91], v[164:165], s[10:11], -v[102:103]
	v_add_f64 v[92:93], v[92:93], v[94:95]
	v_mul_f64 v[96:97], v[184:185], s[18:19]
	v_fma_f64 v[102:103], s[34:35], v[160:161], v[100:101]
	v_add_f64 v[106:107], v[106:107], v[110:111]
	v_mul_f64 v[228:229], v[162:163], s[50:51]
	v_fma_f64 v[234:235], s[36:37], v[148:149], v[232:233]
	v_add_f64 v[238:239], v[238:239], v[242:243]
	v_add_f64 v[90:91], v[90:91], v[92:93]
	v_mul_f64 v[94:95], v[192:193], s[10:11]
	v_fma_f64 v[98:99], s[30:31], v[170:171], v[96:97]
	v_add_f64 v[102:103], v[102:103], v[106:107]
	v_mul_f64 v[110:111], v[176:177], s[40:41]
	v_fma_f64 v[230:231], s[28:29], v[152:153], v[228:229]
	v_add_f64 v[234:235], v[234:235], v[238:239]
	;; [unrolled: 7-line block ×3, first 2 shown]
	v_add_f64 v[84:85], v[84:85], v[88:89]
	v_fma_f64 v[88:89], s[6:7], v[186:187], v[92:93]
	v_add_f64 v[90:91], v[90:91], v[98:99]
	v_mul_f64 v[98:99], v[188:189], s[52:53]
	v_fma_f64 v[106:107], s[10:11], v[168:169], v[102:103]
	v_add_f64 v[224:225], v[224:225], v[230:231]
	v_add_f64 v[90:91], v[88:89], v[90:91]
	v_fma_f64 v[88:89], s[2:3], v[174:175], v[98:99]
	v_add_f64 v[106:107], v[106:107], v[224:225]
	v_fmac_f64_e32 v[226:227], s[12:13], v[130:131]
	v_add_f64 v[88:89], v[88:89], v[106:107]
	v_fmac_f64_e32 v[222:223], s[24:25], v[140:141]
	;; [unrolled: 2-line block ×6, first 2 shown]
	v_add_f64 v[100:101], v[100:101], v[104:105]
	v_fma_f64 v[108:109], v[128:129], s[8:9], -v[244:245]
	v_mul_f64 v[234:235], v[138:139], s[14:15]
	v_fmac_f64_e32 v[94:95], s[46:47], v[178:179]
	v_add_f64 v[96:97], v[96:97], v[100:101]
	v_fma_f64 v[104:105], v[136:137], s[22:23], -v[236:237]
	v_fma_f64 v[106:107], v[134:135], s[14:15], -v[240:241]
	v_add_f64 v[108:109], v[12:13], v[108:109]
	v_mul_f64 v[230:231], v[150:151], s[36:37]
	v_fma_f64 v[236:237], s[24:25], v[130:131], v[234:235]
	v_mul_f64 v[248:249], v[132:133], s[42:43]
	v_add_f64 v[94:95], v[94:95], v[96:97]
	v_fma_f64 v[96:97], v[168:169], s[10:11], -v[102:103]
	v_fma_f64 v[102:103], v[148:149], s[36:37], -v[232:233]
	v_add_f64 v[106:107], v[106:107], v[108:109]
	v_mul_f64 v[226:227], v[156:157], s[18:19]
	v_fma_f64 v[232:233], s[38:39], v[140:141], v[230:231]
	v_add_f64 v[236:237], v[14:15], v[236:237]
	v_mul_f64 v[244:245], v[142:143], s[48:49]
	v_fma_f64 v[250:251], s[14:15], v[128:129], v[248:249]
	v_fma_f64 v[100:101], v[152:153], s[28:29], -v[228:229]
	v_add_f64 v[104:105], v[104:105], v[106:107]
	v_mul_f64 v[222:223], v[166:167], s[2:3]
	v_fma_f64 v[228:229], s[40:41], v[144:145], v[226:227]
	v_add_f64 v[232:233], v[232:233], v[236:237]
	v_mul_f64 v[242:243], v[146:147], s[30:31]
	v_fma_f64 v[246:247], s[36:37], v[134:135], v[244:245]
	v_add_f64 v[250:251], v[12:13], v[250:251]
	v_fmac_f64_e32 v[92:93], s[52:53], v[186:187]
	v_add_f64 v[102:103], v[102:103], v[104:105]
	v_mul_f64 v[108:109], v[172:173], s[10:11]
	v_fma_f64 v[224:225], s[52:53], v[154:155], v[222:223]
	v_add_f64 v[228:229], v[228:229], v[232:233]
	v_mul_f64 v[240:241], v[158:159], s[6:7]
	v_add_f64 v[246:247], v[246:247], v[250:251]
	v_fma_f64 v[250:251], s[18:19], v[136:137], v[242:243]
	v_add_f64 v[94:95], v[92:93], v[94:95]
	v_fma_f64 v[92:93], v[174:175], s[2:3], -v[98:99]
	v_fma_f64 v[98:99], v[164:165], s[18:19], -v[110:111]
	v_add_f64 v[100:101], v[100:101], v[102:103]
	v_mul_f64 v[104:105], v[184:185], s[28:29]
	v_fma_f64 v[110:111], s[20:21], v[160:161], v[108:109]
	v_add_f64 v[224:225], v[224:225], v[228:229]
	v_mul_f64 v[236:237], v[162:163], s[46:47]
	v_add_f64 v[246:247], v[250:251], v[246:247]
	v_fma_f64 v[250:251], s[2:3], v[148:149], v[240:241]
	v_add_f64 v[98:99], v[98:99], v[100:101]
	v_mul_f64 v[102:103], v[192:193], s[22:23]
	v_fma_f64 v[106:107], s[34:35], v[170:171], v[104:105]
	v_add_f64 v[110:111], v[110:111], v[224:225]
	v_mul_f64 v[228:229], v[176:177], s[50:51]
	v_fma_f64 v[238:239], s[10:11], v[152:153], v[236:237]
	v_add_f64 v[246:247], v[250:251], v[246:247]
	v_add_f64 v[96:97], v[96:97], v[98:99]
	v_mul_f64 v[100:101], v[196:197], s[8:9]
	v_fma_f64 v[98:99], s[54:55], v[178:179], v[102:103]
	v_add_f64 v[106:107], v[106:107], v[110:111]
	v_mul_f64 v[110:111], v[180:181], s[26:27]
	v_fma_f64 v[232:233], s[28:29], v[164:165], v[228:229]
	v_add_f64 v[238:239], v[238:239], v[246:247]
	v_add_f64 v[92:93], v[92:93], v[96:97]
	v_fma_f64 v[96:97], s[44:45], v[186:187], v[100:101]
	v_add_f64 v[98:99], v[98:99], v[106:107]
	v_mul_f64 v[106:107], v[188:189], s[12:13]
	v_fma_f64 v[224:225], s[22:23], v[168:169], v[110:111]
	v_add_f64 v[232:233], v[232:233], v[238:239]
	v_add_f64 v[98:99], v[96:97], v[98:99]
	v_fma_f64 v[96:97], s[8:9], v[174:175], v[106:107]
	v_add_f64 v[224:225], v[224:225], v[232:233]
	v_fmac_f64_e32 v[234:235], s[42:43], v[130:131]
	v_add_f64 v[96:97], v[96:97], v[224:225]
	v_fmac_f64_e32 v[230:231], s[48:49], v[140:141]
	v_add_f64 v[224:225], v[14:15], v[234:235]
	v_fmac_f64_e32 v[226:227], s[30:31], v[144:145]
	v_add_f64 v[224:225], v[230:231], v[224:225]
	v_fmac_f64_e32 v[222:223], s[6:7], v[154:155]
	v_add_f64 v[224:225], v[226:227], v[224:225]
	v_fmac_f64_e32 v[108:109], s[46:47], v[160:161]
	v_add_f64 v[222:223], v[222:223], v[224:225]
	v_fmac_f64_e32 v[104:105], s[50:51], v[170:171]
	v_add_f64 v[108:109], v[108:109], v[222:223]
	v_fma_f64 v[222:223], v[136:137], s[18:19], -v[242:243]
	v_fma_f64 v[226:227], v[128:129], s[14:15], -v[248:249]
	v_mul_f64 v[242:243], v[138:139], s[28:29]
	v_fmac_f64_e32 v[102:103], s[26:27], v[178:179]
	v_add_f64 v[104:105], v[104:105], v[108:109]
	v_fma_f64 v[224:225], v[134:135], s[36:37], -v[244:245]
	v_add_f64 v[226:227], v[12:13], v[226:227]
	v_mul_f64 v[238:239], v[150:151], s[10:11]
	v_fma_f64 v[244:245], s[50:51], v[130:131], v[242:243]
	v_add_f64 v[102:103], v[102:103], v[104:105]
	v_fma_f64 v[104:105], v[168:169], s[22:23], -v[110:111]
	v_fma_f64 v[110:111], v[148:149], s[2:3], -v[240:241]
	v_add_f64 v[224:225], v[224:225], v[226:227]
	v_mul_f64 v[234:235], v[156:157], s[14:15]
	v_fma_f64 v[240:241], s[20:21], v[140:141], v[238:239]
	v_add_f64 v[244:245], v[14:15], v[244:245]
	v_fma_f64 v[108:109], v[152:153], s[10:11], -v[236:237]
	v_add_f64 v[222:223], v[222:223], v[224:225]
	v_mul_f64 v[230:231], v[166:167], s[22:23]
	v_fma_f64 v[236:237], s[42:43], v[144:145], v[234:235]
	v_add_f64 v[240:241], v[240:241], v[244:245]
	v_fmac_f64_e32 v[100:101], s[12:13], v[186:187]
	v_add_f64 v[110:111], v[110:111], v[222:223]
	v_mul_f64 v[226:227], v[172:173], s[2:3]
	v_fma_f64 v[232:233], s[26:27], v[154:155], v[230:231]
	v_add_f64 v[236:237], v[236:237], v[240:241]
	v_add_f64 v[102:103], v[100:101], v[102:103]
	v_fma_f64 v[100:101], v[174:175], s[8:9], -v[106:107]
	v_fma_f64 v[106:107], v[164:165], s[28:29], -v[228:229]
	v_add_f64 v[108:109], v[108:109], v[110:111]
	v_mul_f64 v[222:223], v[184:185], s[36:37]
	v_fma_f64 v[228:229], s[52:53], v[160:161], v[226:227]
	v_add_f64 v[232:233], v[232:233], v[236:237]
	v_add_f64 v[106:107], v[106:107], v[108:109]
	v_mul_f64 v[110:111], v[192:193], s[8:9]
	v_fma_f64 v[224:225], s[48:49], v[170:171], v[222:223]
	v_add_f64 v[228:229], v[228:229], v[232:233]
	;; [unrolled: 4-line block ×3, first 2 shown]
	v_mul_f64 v[248:249], v[132:133], s[34:35]
	v_add_f64 v[100:101], v[100:101], v[104:105]
	v_fma_f64 v[104:105], s[40:41], v[186:187], v[108:109]
	v_add_f64 v[106:107], v[106:107], v[224:225]
	v_mul_f64 v[246:247], v[142:143], s[46:47]
	v_fma_f64 v[250:251], s[28:29], v[128:129], v[248:249]
	v_add_f64 v[106:107], v[104:105], v[106:107]
	v_mul_f64 v[244:245], v[146:147], s[24:25]
	;; [unrolled: 3-line block ×3, first 2 shown]
	v_add_f64 v[104:105], v[104:105], v[250:251]
	v_fma_f64 v[250:251], s[14:15], v[136:137], v[244:245]
	v_mul_f64 v[236:237], v[162:163], s[6:7]
	v_add_f64 v[104:105], v[250:251], v[104:105]
	v_fma_f64 v[250:251], s[22:23], v[148:149], v[240:241]
	v_mul_f64 v[232:233], v[176:177], s[38:39]
	;; [unrolled: 3-line block ×3, first 2 shown]
	v_add_f64 v[104:105], v[250:251], v[104:105]
	v_fma_f64 v[250:251], s[36:37], v[164:165], v[232:233]
	v_fmac_f64_e32 v[242:243], s[34:35], v[130:131]
	v_mul_f64 v[224:225], v[188:189], s[30:31]
	v_add_f64 v[104:105], v[250:251], v[104:105]
	v_fma_f64 v[250:251], s[8:9], v[168:169], v[228:229]
	v_fmac_f64_e32 v[238:239], s[46:47], v[140:141]
	v_add_f64 v[242:243], v[14:15], v[242:243]
	v_add_f64 v[104:105], v[250:251], v[104:105]
	v_fma_f64 v[250:251], s[18:19], v[174:175], v[224:225]
	v_add_f64 v[238:239], v[238:239], v[242:243]
	v_fmac_f64_e32 v[234:235], s[24:25], v[144:145]
	v_add_f64 v[104:105], v[250:251], v[104:105]
	v_mul_f64 v[250:251], v[138:139], s[2:3]
	v_add_f64 v[234:235], v[234:235], v[238:239]
	v_fmac_f64_e32 v[230:231], s[54:55], v[154:155]
	v_fma_f64 v[248:249], v[128:129], s[28:29], -v[248:249]
	v_mul_f64 v[242:243], v[150:151], s[8:9]
	v_add_f64 v[230:231], v[230:231], v[234:235]
	v_fmac_f64_e32 v[226:227], s[6:7], v[160:161]
	v_fma_f64 v[246:247], v[134:135], s[10:11], -v[246:247]
	v_add_f64 v[248:249], v[12:13], v[248:249]
	v_add_f64 v[114:115], v[114:115], v[250:251]
	v_mul_f64 v[234:235], v[156:157], s[10:11]
	v_add_f64 v[226:227], v[226:227], v[230:231]
	v_fmac_f64_e32 v[222:223], s[38:39], v[170:171]
	v_add_f64 v[246:247], v[246:247], v[248:249]
	v_fma_f64 v[244:245], v[136:137], s[14:15], -v[244:245]
	v_add_f64 v[118:119], v[118:119], v[242:243]
	v_add_f64 v[114:115], v[14:15], v[114:115]
	;; [unrolled: 1-line block ×3, first 2 shown]
	v_mul_f64 v[226:227], v[166:167], s[14:15]
	v_add_f64 v[244:245], v[244:245], v[246:247]
	v_fma_f64 v[240:241], v[148:149], s[22:23], -v[240:241]
	v_add_f64 v[190:191], v[190:191], v[234:235]
	v_add_f64 v[114:115], v[118:119], v[114:115]
	v_mul_f64 v[248:249], v[172:173], s[18:19]
	v_add_f64 v[240:241], v[240:241], v[244:245]
	v_fma_f64 v[236:237], v[152:153], s[2:3], -v[236:237]
	v_add_f64 v[200:201], v[200:201], v[226:227]
	v_add_f64 v[114:115], v[190:191], v[114:115]
	v_fmac_f64_e32 v[110:111], s[44:45], v[178:179]
	v_mul_f64 v[244:245], v[184:185], s[22:23]
	v_add_f64 v[236:237], v[236:237], v[240:241]
	v_fma_f64 v[232:233], v[164:165], s[36:37], -v[232:233]
	v_add_f64 v[202:203], v[202:203], v[248:249]
	v_add_f64 v[114:115], v[200:201], v[114:115]
	v_mul_f64 v[214:215], v[128:129], s[2:3]
	v_add_f64 v[110:111], v[110:111], v[222:223]
	v_add_f64 v[232:233], v[232:233], v[236:237]
	v_mul_f64 v[236:237], v[192:193], s[28:29]
	v_fmac_f64_e32 v[108:109], s[30:31], v[186:187]
	v_add_f64 v[208:209], v[208:209], v[244:245]
	v_add_f64 v[114:115], v[202:203], v[114:115]
	v_mul_f64 v[252:253], v[134:135], s[8:9]
	v_add_f64 v[110:111], v[108:109], v[110:111]
	v_fma_f64 v[108:109], v[174:175], s[18:19], -v[224:225]
	v_mul_f64 v[224:225], v[196:197], s[36:37]
	v_add_f64 v[210:211], v[210:211], v[236:237]
	v_add_f64 v[114:115], v[208:209], v[114:115]
	v_add_f64 v[112:113], v[214:215], -v[112:113]
	v_mul_f64 v[238:239], v[136:137], s[10:11]
	v_fma_f64 v[228:229], v[168:169], s[8:9], -v[228:229]
	v_add_f64 v[216:217], v[216:217], v[224:225]
	v_add_f64 v[114:115], v[210:211], v[114:115]
	v_add_f64 v[116:117], v[252:253], -v[116:117]
	v_add_f64 v[112:113], v[12:13], v[112:113]
	v_mul_f64 v[230:231], v[148:149], s[14:15]
	v_mul_f64 v[222:223], v[152:153], s[18:19]
	v_add_f64 v[228:229], v[228:229], v[232:233]
	v_mul_f64 v[232:233], v[174:175], s[36:37]
	v_add_f64 v[118:119], v[216:217], v[114:115]
	v_add_f64 v[182:183], v[238:239], -v[182:183]
	v_add_f64 v[112:113], v[116:117], v[112:113]
	v_mul_f64 v[216:217], v[138:139], s[18:19]
	v_mul_f64 v[240:241], v[168:169], s[28:29]
	v_add_f64 v[114:115], v[232:233], -v[212:213]
	v_add_f64 v[198:199], v[222:223], -v[198:199]
	;; [unrolled: 1-line block ×3, first 2 shown]
	v_add_f64 v[112:113], v[182:183], v[112:113]
	v_mul_f64 v[212:213], v[150:151], s[28:29]
	v_fma_f64 v[222:223], s[30:31], v[130:131], v[216:217]
	v_mul_f64 v[238:239], v[132:133], s[40:41]
	v_mul_f64 v[246:247], v[164:165], s[22:23]
	v_add_f64 v[190:191], v[240:241], -v[206:207]
	v_add_f64 v[112:113], v[194:195], v[112:113]
	v_mul_f64 v[208:209], v[156:157], s[8:9]
	v_fma_f64 v[214:215], s[50:51], v[140:141], v[212:213]
	v_add_f64 v[222:223], v[14:15], v[222:223]
	v_mul_f64 v[234:235], v[142:143], s[34:35]
	v_fma_f64 v[240:241], s[18:19], v[128:129], v[238:239]
	v_add_f64 v[200:201], v[246:247], -v[204:205]
	v_add_f64 v[112:113], v[198:199], v[112:113]
	v_mul_f64 v[204:205], v[166:167], s[10:11]
	v_fma_f64 v[210:211], s[44:45], v[144:145], v[208:209]
	v_add_f64 v[214:215], v[214:215], v[222:223]
	v_mul_f64 v[230:231], v[146:147], s[12:13]
	v_fma_f64 v[236:237], s[28:29], v[134:135], v[234:235]
	v_add_f64 v[240:241], v[12:13], v[240:241]
	v_add_f64 v[112:113], v[200:201], v[112:113]
	v_mul_f64 v[200:201], v[172:173], s[36:37]
	v_fma_f64 v[206:207], s[20:21], v[154:155], v[204:205]
	v_add_f64 v[210:211], v[210:211], v[214:215]
	v_mul_f64 v[226:227], v[158:159], s[46:47]
	v_fma_f64 v[232:233], s[8:9], v[136:137], v[230:231]
	v_add_f64 v[236:237], v[236:237], v[240:241]
	;; [unrolled: 7-line block ×5, first 2 shown]
	v_fma_f64 v[112:113], s[26:27], v[186:187], v[182:183]
	v_add_f64 v[114:115], v[114:115], v[198:199]
	v_mul_f64 v[198:199], v[188:189], s[54:55]
	v_fma_f64 v[206:207], s[2:3], v[168:169], v[202:203]
	v_add_f64 v[214:215], v[214:215], v[224:225]
	v_add_f64 v[114:115], v[112:113], v[114:115]
	v_fma_f64 v[112:113], s[22:23], v[174:175], v[198:199]
	v_add_f64 v[206:207], v[206:207], v[214:215]
	v_fmac_f64_e32 v[216:217], s[40:41], v[130:131]
	v_add_f64 v[112:113], v[112:113], v[206:207]
	v_fmac_f64_e32 v[212:213], s[34:35], v[140:141]
	v_add_f64 v[206:207], v[14:15], v[216:217]
	v_add_f64 v[8:9], v[12:13], v[8:9]
	v_fmac_f64_e32 v[208:209], s[12:13], v[144:145]
	v_add_f64 v[206:207], v[212:213], v[206:207]
	v_add_f64 v[10:11], v[14:15], v[10:11]
	v_add_f64 v[8:9], v[8:9], v[16:17]
	v_fmac_f64_e32 v[204:205], s[46:47], v[154:155]
	v_add_f64 v[206:207], v[208:209], v[206:207]
	;; [unrolled: 4-line block ×4, first 2 shown]
	v_fma_f64 v[208:209], v[128:129], s[18:19], -v[238:239]
	v_add_f64 v[10:11], v[10:11], v[38:39]
	v_add_f64 v[8:9], v[8:9], v[40:41]
	v_fmac_f64_e32 v[190:191], s[52:53], v[178:179]
	v_add_f64 v[194:195], v[194:195], v[200:201]
	v_fma_f64 v[206:207], v[134:135], s[28:29], -v[234:235]
	v_add_f64 v[208:209], v[12:13], v[208:209]
	v_add_f64 v[10:11], v[10:11], v[42:43]
	;; [unrolled: 1-line block ×3, first 2 shown]
	v_fmac_f64_e32 v[182:183], s[54:55], v[186:187]
	v_add_f64 v[190:191], v[190:191], v[194:195]
	v_fma_f64 v[204:205], v[136:137], s[8:9], -v[230:231]
	v_add_f64 v[206:207], v[206:207], v[208:209]
	v_mul_f64 v[138:139], v[138:139], s[22:23]
	v_add_f64 v[10:11], v[10:11], v[54:55]
	v_add_f64 v[8:9], v[8:9], v[56:57]
	;; [unrolled: 1-line block ×3, first 2 shown]
	v_fma_f64 v[190:191], v[168:169], s[2:3], -v[202:203]
	v_fma_f64 v[194:195], v[164:165], s[14:15], -v[210:211]
	;; [unrolled: 1-line block ×3, first 2 shown]
	v_add_f64 v[204:205], v[204:205], v[206:207]
	v_mul_f64 v[150:151], v[150:151], s[18:19]
	v_fma_f64 v[210:211], s[54:55], v[130:131], v[138:139]
	v_add_f64 v[10:11], v[10:11], v[58:59]
	v_add_f64 v[8:9], v[8:9], v[64:65]
	v_fma_f64 v[182:183], v[174:175], s[22:23], -v[198:199]
	v_fma_f64 v[198:199], v[152:153], s[36:37], -v[222:223]
	v_add_f64 v[202:203], v[202:203], v[204:205]
	v_mul_f64 v[156:157], v[156:157], s[2:3]
	v_fma_f64 v[208:209], s[30:31], v[140:141], v[150:151]
	v_add_f64 v[210:211], v[14:15], v[210:211]
	v_mul_f64 v[132:133], v[132:133], s[26:27]
	v_add_f64 v[10:11], v[10:11], v[66:67]
	v_add_f64 v[8:9], v[8:9], v[68:69]
	;; [unrolled: 1-line block ×3, first 2 shown]
	v_mul_f64 v[166:167], v[166:167], s[28:29]
	v_fma_f64 v[206:207], s[52:53], v[144:145], v[156:157]
	v_add_f64 v[208:209], v[208:209], v[210:211]
	v_mul_f64 v[142:143], v[142:143], s[40:41]
	v_fma_f64 v[212:213], s[22:23], v[128:129], v[132:133]
	v_fmac_f64_e32 v[138:139], s[26:27], v[130:131]
	v_fma_f64 v[128:129], v[128:129], s[22:23], -v[132:133]
	v_add_f64 v[10:11], v[10:11], v[70:71]
	v_add_f64 v[8:9], v[8:9], v[60:61]
	;; [unrolled: 1-line block ×3, first 2 shown]
	v_mul_f64 v[172:173], v[172:173], s[14:15]
	v_fma_f64 v[204:205], s[50:51], v[154:155], v[166:167]
	v_add_f64 v[206:207], v[206:207], v[208:209]
	v_mul_f64 v[146:147], v[146:147], s[6:7]
	v_fma_f64 v[210:211], s[18:19], v[134:135], v[142:143]
	v_add_f64 v[212:213], v[12:13], v[212:213]
	v_fmac_f64_e32 v[150:151], s[40:41], v[140:141]
	v_add_f64 v[130:131], v[14:15], v[138:139]
	v_fma_f64 v[134:135], v[134:135], s[18:19], -v[142:143]
	v_add_f64 v[128:129], v[12:13], v[128:129]
	v_add_f64 v[10:11], v[10:11], v[62:63]
	;; [unrolled: 1-line block ×4, first 2 shown]
	v_mul_f64 v[184:185], v[184:185], s[8:9]
	v_fma_f64 v[202:203], s[24:25], v[160:161], v[172:173]
	v_add_f64 v[204:205], v[204:205], v[206:207]
	v_mul_f64 v[158:159], v[158:159], s[34:35]
	v_fma_f64 v[208:209], s[2:3], v[136:137], v[146:147]
	v_add_f64 v[210:211], v[210:211], v[212:213]
	v_fmac_f64_e32 v[156:157], s[6:7], v[144:145]
	v_add_f64 v[130:131], v[150:151], v[130:131]
	v_fma_f64 v[136:137], v[136:137], s[2:3], -v[146:147]
	v_add_f64 v[128:129], v[134:135], v[128:129]
	v_add_f64 v[10:11], v[10:11], v[50:51]
	;; [unrolled: 1-line block ×4, first 2 shown]
	v_mul_f64 v[190:191], v[196:197], s[10:11]
	v_mul_f64 v[192:193], v[192:193], s[36:37]
	v_fma_f64 v[196:197], s[44:45], v[170:171], v[184:185]
	v_add_f64 v[202:203], v[202:203], v[204:205]
	v_mul_f64 v[162:163], v[162:163], s[42:43]
	v_fma_f64 v[206:207], s[28:29], v[148:149], v[158:159]
	v_add_f64 v[208:209], v[208:209], v[210:211]
	v_fmac_f64_e32 v[166:167], s[34:35], v[154:155]
	v_add_f64 v[130:131], v[156:157], v[130:131]
	v_fma_f64 v[148:149], v[148:149], s[28:29], -v[158:159]
	v_add_f64 v[128:129], v[136:137], v[128:129]
	v_add_f64 v[10:11], v[10:11], v[46:47]
	;; [unrolled: 1-line block ×3, first 2 shown]
	v_fma_f64 v[194:195], s[48:49], v[178:179], v[192:193]
	v_add_f64 v[196:197], v[196:197], v[202:203]
	v_mul_f64 v[176:177], v[176:177], s[12:13]
	v_fma_f64 v[204:205], s[14:15], v[152:153], v[162:163]
	v_add_f64 v[206:207], v[206:207], v[208:209]
	v_fmac_f64_e32 v[172:173], s[42:43], v[160:161]
	v_add_f64 v[130:131], v[166:167], v[130:131]
	v_fma_f64 v[150:151], v[152:153], s[14:15], -v[162:163]
	v_add_f64 v[128:129], v[148:149], v[128:129]
	v_add_f64 v[10:11], v[10:11], v[34:35]
	;; [unrolled: 1-line block ×4, first 2 shown]
	v_mul_f64 v[196:197], v[180:181], s[38:39]
	v_fma_f64 v[202:203], s[8:9], v[164:165], v[176:177]
	v_add_f64 v[204:205], v[204:205], v[206:207]
	v_fmac_f64_e32 v[184:185], s[12:13], v[170:171]
	v_add_f64 v[130:131], v[172:173], v[130:131]
	v_fma_f64 v[144:145], v[164:165], s[8:9], -v[176:177]
	v_add_f64 v[128:129], v[150:151], v[128:129]
	v_add_f64 v[10:11], v[10:11], v[30:31]
	;; [unrolled: 1-line block ×3, first 2 shown]
	v_fma_f64 v[182:183], s[20:21], v[186:187], v[190:191]
	v_mul_f64 v[188:189], v[188:189], s[46:47]
	v_fma_f64 v[180:181], s[36:37], v[168:169], v[196:197]
	v_add_f64 v[202:203], v[202:203], v[204:205]
	v_fmac_f64_e32 v[192:193], s[38:39], v[178:179]
	v_add_f64 v[130:131], v[184:185], v[130:131]
	v_fma_f64 v[140:141], v[168:169], s[36:37], -v[196:197]
	v_add_f64 v[128:129], v[144:145], v[128:129]
	v_add_f64 v[10:11], v[10:11], v[26:27]
	;; [unrolled: 1-line block ×3, first 2 shown]
	v_mul_u32_u24_e32 v8, 0x110, v122
	v_add_f64 v[182:183], v[182:183], v[194:195]
	v_fma_f64 v[194:195], s[10:11], v[174:175], v[188:189]
	v_add_f64 v[180:181], v[180:181], v[202:203]
	v_fmac_f64_e32 v[190:191], s[46:47], v[186:187]
	v_add_f64 v[130:131], v[192:193], v[130:131]
	v_fma_f64 v[138:139], v[174:175], s[10:11], -v[188:189]
	v_add_f64 v[128:129], v[140:141], v[128:129]
	v_add_f64 v[6:7], v[10:11], v[6:7]
	v_add3_u32 v8, 0, v8, v220
	v_add_f64 v[180:181], v[194:195], v[180:181]
	v_add_f64 v[130:131], v[190:191], v[130:131]
	;; [unrolled: 1-line block ×3, first 2 shown]
	ds_write_b128 v8, v[4:7]
	ds_write_b128 v8, v[128:131] offset:16
	ds_write_b128 v8, v[198:201] offset:32
	;; [unrolled: 1-line block ×16, first 2 shown]
.LBB0_18:
	s_or_b64 exec, exec, s[16:17]
	s_movk_i32 s2, 0xf1
	v_add_u16_e32 v62, 0xaa, v122
	v_mul_lo_u16_sdwa v13, v62, s2 dst_sel:DWORD dst_unused:UNUSED_PAD src0_sel:BYTE_0 src1_sel:DWORD
	v_lshrrev_b16_e32 v109, 12, v13
	v_mul_lo_u16_sdwa v66, v122, s2 dst_sel:DWORD dst_unused:UNUSED_PAD src0_sel:BYTE_0 src1_sel:DWORD
	v_add_u16_e32 v64, 0x55, v122
	v_mul_lo_u16_e32 v13, 17, v109
	v_add_u32_e32 v12, 0xff, v122
	v_lshrrev_b16_e32 v67, 12, v66
	v_mov_b32_e32 v63, 4
	v_mul_lo_u16_sdwa v65, v64, s2 dst_sel:DWORD dst_unused:UNUSED_PAD src0_sel:BYTE_0 src1_sel:DWORD
	v_sub_u16_e32 v13, v62, v13
	s_mov_b32 s2, 0xf0f1
	v_mul_lo_u16_e32 v4, 17, v67
	v_lshlrev_b32_sdwa v110, v63, v13 dst_sel:DWORD dst_unused:UNUSED_PAD src0_sel:DWORD src1_sel:BYTE_0
	v_mul_u32_u24_sdwa v13, v12, s2 dst_sel:DWORD dst_unused:UNUSED_PAD src0_sel:WORD_0 src1_sel:DWORD
	v_mul_u32_u24_sdwa v20, v124, s2 dst_sel:DWORD dst_unused:UNUSED_PAD src0_sel:WORD_0 src1_sel:DWORD
	v_sub_u16_e32 v4, v122, v4
	v_lshrrev_b16_e32 v107, 12, v65
	v_lshrrev_b32_e32 v111, 20, v13
	v_lshrrev_b32_e32 v113, 20, v20
	v_add_u32_e32 v28, 0x1fe, v122
	v_mul_u32_u24_sdwa v24, v126, s2 dst_sel:DWORD dst_unused:UNUSED_PAD src0_sel:WORD_0 src1_sel:DWORD
	v_lshlrev_b32_sdwa v106, v63, v4 dst_sel:DWORD dst_unused:UNUSED_PAD src0_sel:DWORD src1_sel:BYTE_0
	v_mul_lo_u16_e32 v4, 17, v107
	v_mul_lo_u16_e32 v13, 17, v111
	;; [unrolled: 1-line block ×3, first 2 shown]
	v_lshrrev_b32_e32 v115, 20, v24
	v_mul_u32_u24_sdwa v29, v28, s2 dst_sel:DWORD dst_unused:UNUSED_PAD src0_sel:WORD_0 src1_sel:DWORD
	v_sub_u16_e32 v4, v64, v4
	v_sub_u16_e32 v12, v12, v13
	;; [unrolled: 1-line block ×3, first 2 shown]
	v_mul_lo_u16_e32 v24, 17, v115
	v_lshrrev_b32_e32 v117, 20, v29
	s_waitcnt lgkmcnt(0)
	s_barrier
	v_lshlrev_b32_sdwa v108, v63, v4 dst_sel:DWORD dst_unused:UNUSED_PAD src0_sel:DWORD src1_sel:BYTE_0
	global_load_dwordx4 v[4:7], v106, s[4:5]
	global_load_dwordx4 v[8:11], v108, s[4:5]
	v_lshlrev_b32_e32 v112, 4, v12
	global_load_dwordx4 v[12:15], v110, s[4:5]
	global_load_dwordx4 v[16:19], v112, s[4:5]
	v_lshlrev_b32_e32 v114, 4, v20
	v_sub_u16_e32 v24, v126, v24
	v_mul_lo_u16_e32 v29, 17, v117
	global_load_dwordx4 v[20:23], v114, s[4:5]
	v_lshlrev_b32_e32 v116, 4, v24
	global_load_dwordx4 v[24:27], v116, s[4:5]
	v_sub_u16_e32 v28, v28, v29
	v_lshlrev_b32_e32 v118, 4, v28
	global_load_dwordx4 v[28:31], v118, s[4:5]
	ds_read_b128 v[32:35], v219
	ds_read_b128 v[36:39], v123 offset:1360
	ds_read_b128 v[40:43], v123 offset:10880
	;; [unrolled: 1-line block ×11, first 2 shown]
	s_movk_i32 s2, 0x220
	v_lshlrev_b32_e32 v60, 4, v124
	v_mad_u32_u24 v67, v67, s2, 0
	v_lshlrev_b32_e32 v61, 4, v126
	v_add3_u32 v60, 0, v60, v220
	v_add3_u32 v67, v67, v106, v220
	v_add3_u32 v61, 0, v61, v220
	ds_read_b128 v[88:91], v60
	ds_read_b128 v[92:95], v61
	s_waitcnt lgkmcnt(0)
	s_barrier
	s_mov_b32 s3, 0x5040100
	s_waitcnt vmcnt(6)
	v_mul_f64 v[96:97], v[74:75], v[6:7]
	v_mul_f64 v[6:7], v[72:73], v[6:7]
	s_waitcnt vmcnt(5)
	v_mul_f64 v[98:99], v[42:43], v[10:11]
	v_mul_f64 v[10:11], v[40:41], v[10:11]
	;; [unrolled: 3-line block ×4, first 2 shown]
	s_waitcnt vmcnt(2)
	v_mul_f64 v[104:105], v[70:71], v[22:23]
	v_fma_f64 v[72:73], v[72:73], v[4:5], -v[96:97]
	v_fmac_f64_e32 v[6:7], v[74:75], v[4:5]
	v_fma_f64 v[4:5], v[40:41], v[8:9], -v[98:99]
	v_fmac_f64_e32 v[10:11], v[42:43], v[8:9]
	;; [unrolled: 2-line block ×3, first 2 shown]
	v_fma_f64 v[12:13], v[56:57], v[16:17], -v[102:103]
	v_mul_f64 v[56:57], v[68:69], v[22:23]
	v_fmac_f64_e32 v[18:19], v[58:59], v[16:17]
	v_fma_f64 v[16:17], v[68:69], v[20:21], -v[104:105]
	v_fmac_f64_e32 v[56:57], v[70:71], v[20:21]
	s_waitcnt vmcnt(1)
	v_mul_f64 v[20:21], v[82:83], v[26:27]
	v_fma_f64 v[68:69], v[80:81], v[24:25], -v[20:21]
	s_waitcnt vmcnt(0)
	v_mul_f64 v[20:21], v[86:87], v[30:31]
	v_mul_f64 v[70:71], v[80:81], v[26:27]
	v_fma_f64 v[74:75], v[84:85], v[28:29], -v[20:21]
	v_add_f64 v[20:21], v[32:33], -v[72:73]
	v_add_f64 v[22:23], v[34:35], -v[6:7]
	v_fmac_f64_e32 v[70:71], v[82:83], v[24:25]
	v_mul_f64 v[80:81], v[84:85], v[30:31]
	v_fma_f64 v[24:25], v[32:33], 2.0, -v[20:21]
	v_fma_f64 v[26:27], v[34:35], 2.0, -v[22:23]
	v_fmac_f64_e32 v[80:81], v[86:87], v[28:29]
	v_add_f64 v[28:29], v[36:37], -v[4:5]
	v_add_f64 v[30:31], v[38:39], -v[10:11]
	ds_write_b128 v67, v[24:27]
	ds_write_b128 v67, v[20:23] offset:272
	v_mad_u32_u24 v20, v107, s2, 0
	v_fma_f64 v[32:33], v[36:37], 2.0, -v[28:29]
	v_fma_f64 v[34:35], v[38:39], 2.0, -v[30:31]
	v_add3_u32 v20, v20, v108, v220
	v_add_f64 v[36:37], v[48:49], -v[8:9]
	v_add_f64 v[38:39], v[50:51], -v[14:15]
	ds_write_b128 v20, v[32:35]
	ds_write_b128 v20, v[28:31] offset:272
	v_mad_u32_u24 v20, v109, s2, 0
	v_fma_f64 v[40:41], v[48:49], 2.0, -v[36:37]
	v_fma_f64 v[42:43], v[50:51], 2.0, -v[38:39]
	v_add3_u32 v20, v20, v110, v220
	;; [unrolled: 8-line block ×3, first 2 shown]
	ds_write_b128 v20, v[48:51]
	ds_write_b128 v20, v[44:47] offset:272
	v_perm_b32 v20, v115, v113, s3
	v_pk_mul_lo_u16 v20, v20, s2 op_sel_hi:[1,0]
	v_add_f64 v[52:53], v[88:89], -v[16:17]
	v_and_b32_e32 v21, 0xffe0, v20
	v_add_f64 v[54:55], v[90:91], -v[56:57]
	v_add_f64 v[8:9], v[92:93], -v[68:69]
	;; [unrolled: 1-line block ×3, first 2 shown]
	v_add_u32_e32 v21, 0, v21
	v_add_u32_sdwa v20, v125, v20 dst_sel:DWORD dst_unused:UNUSED_PAD src0_sel:DWORD src1_sel:WORD_1
	v_fma_f64 v[56:57], v[88:89], 2.0, -v[52:53]
	v_fma_f64 v[58:59], v[90:91], 2.0, -v[54:55]
	;; [unrolled: 1-line block ×4, first 2 shown]
	v_add3_u32 v21, v21, v114, v220
	v_add3_u32 v20, v20, v116, v220
	v_add_f64 v[16:17], v[76:77], -v[74:75]
	v_add_f64 v[18:19], v[78:79], -v[80:81]
	ds_write_b128 v21, v[56:59]
	ds_write_b128 v21, v[52:55] offset:272
	ds_write_b128 v20, v[4:7]
	ds_write_b128 v20, v[8:11] offset:272
	v_mad_u32_u24 v20, v117, s2, 0
	v_fma_f64 v[12:13], v[76:77], 2.0, -v[16:17]
	v_fma_f64 v[14:15], v[78:79], 2.0, -v[18:19]
	v_add3_u32 v20, v20, v118, v220
	ds_write_b128 v20, v[12:15]
	ds_write_b128 v20, v[16:19] offset:272
	s_waitcnt lgkmcnt(0)
	s_barrier
	ds_read_b128 v[24:27], v219
	ds_read_b128 v[20:23], v123 offset:1360
	ds_read_b128 v[44:47], v123 offset:3808
	;; [unrolled: 1-line block ×9, first 2 shown]
	s_movk_i32 s2, 0x44
	v_cmp_gt_u32_e32 vcc, s2, v122
	s_and_saveexec_b64 s[2:3], vcc
	s_cbranch_execz .LBB0_20
; %bb.19:
	ds_read_b128 v[4:7], v123 offset:2720
	ds_read_b128 v[8:11], v123 offset:6528
	;; [unrolled: 1-line block ×5, first 2 shown]
.LBB0_20:
	s_or_b64 exec, exec, s[2:3]
	v_lshrrev_b16_e32 v67, 13, v66
	v_mul_lo_u16_e32 v66, 34, v67
	v_sub_u16_e32 v114, v122, v66
	v_mov_b32_e32 v66, 6
	v_lshlrev_b32_sdwa v84, v66, v114 dst_sel:DWORD dst_unused:UNUSED_PAD src0_sel:DWORD src1_sel:BYTE_0
	v_lshrrev_b16_e32 v115, 13, v65
	global_load_dwordx4 v[68:71], v84, s[4:5] offset:272
	global_load_dwordx4 v[72:75], v84, s[4:5] offset:288
	;; [unrolled: 1-line block ×4, first 2 shown]
	v_mul_lo_u16_e32 v65, 34, v115
	v_sub_u16_e32 v116, v64, v65
	v_lshlrev_b32_sdwa v64, v66, v116 dst_sel:DWORD dst_unused:UNUSED_PAD src0_sel:DWORD src1_sel:BYTE_0
	global_load_dwordx4 v[84:87], v64, s[4:5] offset:272
	global_load_dwordx4 v[88:91], v64, s[4:5] offset:288
	;; [unrolled: 1-line block ×4, first 2 shown]
	s_mov_b32 s8, 0x134454ff
	s_mov_b32 s9, 0x3fee6f0e
	;; [unrolled: 1-line block ×10, first 2 shown]
	s_movk_i32 s16, 0xaa0
	s_waitcnt lgkmcnt(0)
	s_barrier
	s_waitcnt vmcnt(7)
	v_mul_f64 v[64:65], v[46:47], v[70:71]
	v_mul_f64 v[70:71], v[44:45], v[70:71]
	s_waitcnt vmcnt(6)
	v_mul_f64 v[100:101], v[50:51], v[74:75]
	s_waitcnt vmcnt(4)
	v_mul_f64 v[102:103], v[54:55], v[82:83]
	v_mul_f64 v[74:75], v[48:49], v[74:75]
	v_mul_f64 v[82:83], v[52:53], v[82:83]
	v_mul_f64 v[104:105], v[58:59], v[78:79]
	v_mul_f64 v[78:79], v[56:57], v[78:79]
	s_waitcnt vmcnt(3)
	v_mul_f64 v[106:107], v[30:31], v[86:87]
	v_mul_f64 v[86:87], v[28:29], v[86:87]
	v_fma_f64 v[44:45], v[44:45], v[68:69], -v[64:65]
	v_fmac_f64_e32 v[70:71], v[46:47], v[68:69]
	v_fma_f64 v[46:47], v[48:49], v[72:73], -v[100:101]
	v_fma_f64 v[48:49], v[52:53], v[80:81], -v[102:103]
	s_waitcnt vmcnt(2)
	v_mul_f64 v[108:109], v[34:35], v[90:91]
	v_mul_f64 v[90:91], v[32:33], v[90:91]
	s_waitcnt vmcnt(1)
	v_mul_f64 v[110:111], v[38:39], v[94:95]
	v_fmac_f64_e32 v[74:75], v[50:51], v[72:73]
	v_fmac_f64_e32 v[82:83], v[54:55], v[80:81]
	v_fma_f64 v[50:51], v[56:57], v[76:77], -v[104:105]
	v_fmac_f64_e32 v[78:79], v[58:59], v[76:77]
	v_fma_f64 v[54:55], v[28:29], v[84:85], -v[106:107]
	v_fmac_f64_e32 v[86:87], v[30:31], v[84:85]
	v_add_f64 v[28:29], v[24:25], v[44:45]
	v_add_f64 v[30:31], v[46:47], v[48:49]
	v_mul_f64 v[94:95], v[36:37], v[94:95]
	v_fma_f64 v[58:59], v[32:33], v[88:89], -v[108:109]
	v_fmac_f64_e32 v[90:91], v[34:35], v[88:89]
	v_fma_f64 v[64:65], v[36:37], v[92:93], -v[110:111]
	v_add_f64 v[34:35], v[70:71], -v[78:79]
	v_add_f64 v[32:33], v[44:45], -v[46:47]
	;; [unrolled: 1-line block ×3, first 2 shown]
	v_add_f64 v[72:73], v[28:29], v[46:47]
	v_fma_f64 v[28:29], -0.5, v[30:31], v[24:25]
	s_waitcnt vmcnt(0)
	v_mul_f64 v[112:113], v[42:43], v[98:99]
	v_fmac_f64_e32 v[94:95], v[38:39], v[92:93]
	v_add_f64 v[38:39], v[74:75], -v[82:83]
	v_add_f64 v[30:31], v[32:33], v[36:37]
	v_fma_f64 v[32:33], s[8:9], v[34:35], v[28:29]
	v_fmac_f64_e32 v[28:29], s[12:13], v[34:35]
	v_mul_f64 v[98:99], v[40:41], v[98:99]
	v_fma_f64 v[68:69], v[40:41], v[96:97], -v[112:113]
	v_add_f64 v[40:41], v[44:45], v[50:51]
	v_fmac_f64_e32 v[32:33], s[2:3], v[38:39]
	v_fmac_f64_e32 v[28:29], s[10:11], v[38:39]
	v_fmac_f64_e32 v[24:25], -0.5, v[40:41]
	v_fmac_f64_e32 v[32:33], s[6:7], v[30:31]
	v_fmac_f64_e32 v[28:29], s[6:7], v[30:31]
	v_add_f64 v[30:31], v[74:75], v[82:83]
	v_fmac_f64_e32 v[98:99], v[42:43], v[96:97]
	v_add_f64 v[42:43], v[46:47], -v[44:45]
	v_add_f64 v[52:53], v[48:49], -v[50:51]
	v_fma_f64 v[36:37], s[12:13], v[38:39], v[24:25]
	v_fmac_f64_e32 v[24:25], s[8:9], v[38:39]
	v_fma_f64 v[30:31], -0.5, v[30:31], v[26:27]
	v_add_f64 v[44:45], v[44:45], -v[50:51]
	v_add_f64 v[52:53], v[42:43], v[52:53]
	v_add_f64 v[42:43], v[72:73], v[48:49]
	v_fmac_f64_e32 v[36:37], s[2:3], v[34:35]
	v_fmac_f64_e32 v[24:25], s[10:11], v[34:35]
	v_fma_f64 v[34:35], s[12:13], v[44:45], v[30:31]
	v_add_f64 v[46:47], v[46:47], -v[48:49]
	v_add_f64 v[38:39], v[70:71], -v[74:75]
	;; [unrolled: 1-line block ×3, first 2 shown]
	v_fmac_f64_e32 v[30:31], s[8:9], v[44:45]
	v_fmac_f64_e32 v[34:35], s[10:11], v[46:47]
	v_add_f64 v[38:39], v[38:39], v[48:49]
	v_fmac_f64_e32 v[30:31], s[2:3], v[46:47]
	v_add_f64 v[56:57], v[26:27], v[70:71]
	v_fmac_f64_e32 v[34:35], s[6:7], v[38:39]
	v_fmac_f64_e32 v[30:31], s[6:7], v[38:39]
	v_add_f64 v[38:39], v[70:71], v[78:79]
	v_add_f64 v[40:41], v[56:57], v[74:75]
	v_fmac_f64_e32 v[26:27], -0.5, v[38:39]
	v_add_f64 v[56:57], v[40:41], v[82:83]
	v_add_f64 v[40:41], v[42:43], v[50:51]
	v_fma_f64 v[38:39], s[8:9], v[46:47], v[26:27]
	v_add_f64 v[48:49], v[74:75], -v[70:71]
	v_add_f64 v[50:51], v[82:83], -v[78:79]
	v_fmac_f64_e32 v[26:27], s[12:13], v[46:47]
	v_fmac_f64_e32 v[38:39], s[10:11], v[44:45]
	v_add_f64 v[48:49], v[48:49], v[50:51]
	v_fmac_f64_e32 v[26:27], s[2:3], v[44:45]
	v_add_f64 v[46:47], v[58:59], v[64:65]
	v_fmac_f64_e32 v[38:39], s[6:7], v[48:49]
	v_fmac_f64_e32 v[26:27], s[6:7], v[48:49]
	v_fma_f64 v[48:49], -0.5, v[46:47], v[20:21]
	v_add_f64 v[46:47], v[86:87], -v[98:99]
	v_add_f64 v[42:43], v[56:57], v[78:79]
	v_fmac_f64_e32 v[36:37], s[6:7], v[52:53]
	v_fmac_f64_e32 v[24:25], s[6:7], v[52:53]
	v_fma_f64 v[52:53], s[8:9], v[46:47], v[48:49]
	v_add_f64 v[50:51], v[90:91], -v[94:95]
	v_add_f64 v[56:57], v[54:55], -v[58:59]
	;; [unrolled: 1-line block ×3, first 2 shown]
	v_fmac_f64_e32 v[48:49], s[12:13], v[46:47]
	v_fmac_f64_e32 v[52:53], s[2:3], v[50:51]
	v_add_f64 v[56:57], v[56:57], v[70:71]
	v_fmac_f64_e32 v[48:49], s[10:11], v[50:51]
	v_add_f64 v[44:45], v[20:21], v[54:55]
	v_fmac_f64_e32 v[52:53], s[6:7], v[56:57]
	v_fmac_f64_e32 v[48:49], s[6:7], v[56:57]
	v_add_f64 v[56:57], v[54:55], v[68:69]
	v_add_f64 v[44:45], v[44:45], v[58:59]
	v_fmac_f64_e32 v[20:21], -0.5, v[56:57]
	v_add_f64 v[44:45], v[44:45], v[64:65]
	v_fma_f64 v[56:57], s[12:13], v[50:51], v[20:21]
	v_add_f64 v[70:71], v[58:59], -v[54:55]
	v_add_f64 v[72:73], v[64:65], -v[68:69]
	v_fmac_f64_e32 v[20:21], s[8:9], v[50:51]
	v_add_f64 v[50:51], v[90:91], v[94:95]
	v_add_f64 v[44:45], v[44:45], v[68:69]
	v_fmac_f64_e32 v[56:57], s[2:3], v[46:47]
	v_add_f64 v[70:71], v[70:71], v[72:73]
	v_fmac_f64_e32 v[20:21], s[10:11], v[46:47]
	v_fma_f64 v[50:51], -0.5, v[50:51], v[22:23]
	v_add_f64 v[68:69], v[54:55], -v[68:69]
	v_fmac_f64_e32 v[56:57], s[6:7], v[70:71]
	v_fmac_f64_e32 v[20:21], s[6:7], v[70:71]
	v_fma_f64 v[54:55], s[12:13], v[68:69], v[50:51]
	v_add_f64 v[64:65], v[58:59], -v[64:65]
	v_add_f64 v[58:59], v[86:87], -v[90:91]
	;; [unrolled: 1-line block ×3, first 2 shown]
	v_fmac_f64_e32 v[50:51], s[8:9], v[68:69]
	v_fmac_f64_e32 v[54:55], s[10:11], v[64:65]
	v_add_f64 v[58:59], v[58:59], v[70:71]
	v_fmac_f64_e32 v[50:51], s[2:3], v[64:65]
	v_fmac_f64_e32 v[54:55], s[6:7], v[58:59]
	v_fmac_f64_e32 v[50:51], s[6:7], v[58:59]
	v_add_f64 v[58:59], v[86:87], v[98:99]
	v_add_f64 v[46:47], v[22:23], v[86:87]
	v_fmac_f64_e32 v[22:23], -0.5, v[58:59]
	v_fma_f64 v[58:59], s[8:9], v[64:65], v[22:23]
	v_fmac_f64_e32 v[22:23], s[12:13], v[64:65]
	v_mad_u32_u24 v64, v67, s16, 0
	v_lshlrev_b32_sdwa v65, v63, v114 dst_sel:DWORD dst_unused:UNUSED_PAD src0_sel:DWORD src1_sel:BYTE_0
	v_add_f64 v[46:47], v[46:47], v[90:91]
	v_add3_u32 v64, v64, v65, v220
	v_add_f64 v[46:47], v[46:47], v[94:95]
	v_add_f64 v[70:71], v[90:91], -v[86:87]
	v_add_f64 v[72:73], v[94:95], -v[98:99]
	ds_write_b128 v64, v[40:43]
	ds_write_b128 v64, v[32:35] offset:544
	ds_write_b128 v64, v[36:39] offset:1088
	;; [unrolled: 1-line block ×4, first 2 shown]
	v_mad_u32_u24 v24, v115, s16, 0
	v_lshlrev_b32_sdwa v25, v63, v116 dst_sel:DWORD dst_unused:UNUSED_PAD src0_sel:DWORD src1_sel:BYTE_0
	v_add_f64 v[46:47], v[46:47], v[98:99]
	v_fmac_f64_e32 v[58:59], s[10:11], v[68:69]
	v_add_f64 v[70:71], v[70:71], v[72:73]
	v_fmac_f64_e32 v[22:23], s[2:3], v[68:69]
	v_add3_u32 v24, v24, v25, v220
	v_fmac_f64_e32 v[58:59], s[6:7], v[70:71]
	v_fmac_f64_e32 v[22:23], s[6:7], v[70:71]
	ds_write_b128 v24, v[44:47]
	ds_write_b128 v24, v[52:55] offset:544
	ds_write_b128 v24, v[56:59] offset:1088
	;; [unrolled: 1-line block ×4, first 2 shown]
	s_and_saveexec_b64 s[14:15], vcc
	s_cbranch_execz .LBB0_22
; %bb.21:
	s_movk_i32 s17, 0xf1
	v_mul_lo_u16_sdwa v20, v62, s17 dst_sel:DWORD dst_unused:UNUSED_PAD src0_sel:BYTE_0 src1_sel:DWORD
	v_lshrrev_b16_e32 v36, 13, v20
	v_mul_lo_u16_e32 v20, 34, v36
	v_sub_u16_e32 v37, v62, v20
	v_lshlrev_b32_sdwa v38, v66, v37 dst_sel:DWORD dst_unused:UNUSED_PAD src0_sel:DWORD src1_sel:BYTE_0
	global_load_dwordx4 v[20:23], v38, s[4:5] offset:288
	global_load_dwordx4 v[24:27], v38, s[4:5] offset:272
	;; [unrolled: 1-line block ×4, first 2 shown]
	v_mov_b32_e32 v38, 4
	v_mad_u32_u24 v36, v36, s16, 0
	v_lshlrev_b32_sdwa v37, v38, v37 dst_sel:DWORD dst_unused:UNUSED_PAD src0_sel:DWORD src1_sel:BYTE_0
	v_add3_u32 v56, v36, v37, v220
	s_waitcnt vmcnt(3)
	v_mul_f64 v[36:37], v[12:13], v[22:23]
	s_waitcnt vmcnt(2)
	v_mul_f64 v[38:39], v[8:9], v[26:27]
	;; [unrolled: 2-line block ×4, first 2 shown]
	v_mul_f64 v[26:27], v[10:11], v[26:27]
	v_mul_f64 v[34:35], v[2:3], v[34:35]
	v_mul_f64 v[22:23], v[14:15], v[22:23]
	v_mul_f64 v[30:31], v[18:19], v[30:31]
	v_fmac_f64_e32 v[36:37], v[14:15], v[20:21]
	v_fmac_f64_e32 v[38:39], v[10:11], v[24:25]
	;; [unrolled: 1-line block ×4, first 2 shown]
	v_fma_f64 v[2:3], v[8:9], v[24:25], -v[26:27]
	v_fma_f64 v[24:25], v[0:1], v[32:33], -v[34:35]
	v_fma_f64 v[8:9], v[12:13], v[20:21], -v[22:23]
	v_fma_f64 v[16:17], v[16:17], v[28:29], -v[30:31]
	v_add_f64 v[0:1], v[36:37], -v[38:39]
	v_add_f64 v[10:11], v[40:41], -v[42:43]
	v_add_f64 v[12:13], v[38:39], v[42:43]
	v_add_f64 v[26:27], v[36:37], v[40:41]
	;; [unrolled: 1-line block ×3, first 2 shown]
	v_add_f64 v[30:31], v[8:9], -v[2:3]
	v_add_f64 v[32:33], v[16:17], -v[24:25]
	v_add_f64 v[44:45], v[2:3], v[24:25]
	v_add_f64 v[50:51], v[8:9], v[16:17]
	;; [unrolled: 1-line block ×3, first 2 shown]
	v_add_f64 v[18:19], v[2:3], -v[24:25]
	v_add_f64 v[20:21], v[8:9], -v[16:17]
	;; [unrolled: 1-line block ×7, first 2 shown]
	v_add_f64 v[54:55], v[0:1], v[10:11]
	v_fma_f64 v[2:3], -0.5, v[12:13], v[6:7]
	v_fma_f64 v[6:7], -0.5, v[26:27], v[6:7]
	v_add_f64 v[12:13], v[28:29], v[36:37]
	v_add_f64 v[26:27], v[30:31], v[32:33]
	v_fma_f64 v[0:1], -0.5, v[44:45], v[4:5]
	v_fma_f64 v[4:5], -0.5, v[50:51], v[4:5]
	v_add_f64 v[30:31], v[52:53], v[8:9]
	v_add_f64 v[48:49], v[24:25], -v[16:17]
	v_add_f64 v[22:23], v[14:15], v[22:23]
	v_fma_f64 v[10:11], s[12:13], v[20:21], v[2:3]
	v_fmac_f64_e32 v[2:3], s[8:9], v[20:21]
	v_fma_f64 v[14:15], s[8:9], v[18:19], v[6:7]
	v_fmac_f64_e32 v[6:7], s[12:13], v[18:19]
	v_add_f64 v[32:33], v[12:13], v[40:41]
	v_fma_f64 v[8:9], s[8:9], v[34:35], v[0:1]
	v_fmac_f64_e32 v[0:1], s[12:13], v[34:35]
	v_fma_f64 v[12:13], s[12:13], v[38:39], v[4:5]
	v_fmac_f64_e32 v[4:5], s[8:9], v[38:39]
	v_add_f64 v[16:17], v[30:31], v[16:17]
	v_add_f64 v[28:29], v[46:47], v[48:49]
	v_fmac_f64_e32 v[10:11], s[2:3], v[18:19]
	v_fmac_f64_e32 v[2:3], s[10:11], v[18:19]
	v_fmac_f64_e32 v[14:15], s[2:3], v[20:21]
	v_fmac_f64_e32 v[6:7], s[10:11], v[20:21]
	v_add_f64 v[18:19], v[32:33], v[42:43]
	v_fmac_f64_e32 v[8:9], s[10:11], v[38:39]
	v_fmac_f64_e32 v[0:1], s[2:3], v[38:39]
	v_fmac_f64_e32 v[12:13], s[10:11], v[34:35]
	v_fmac_f64_e32 v[4:5], s[2:3], v[34:35]
	;; [unrolled: 5-line block ×3, first 2 shown]
	v_fmac_f64_e32 v[8:9], s[6:7], v[26:27]
	v_fmac_f64_e32 v[0:1], s[6:7], v[26:27]
	;; [unrolled: 1-line block ×4, first 2 shown]
	ds_write_b128 v56, v[16:19]
	ds_write_b128 v56, v[4:7] offset:544
	ds_write_b128 v56, v[0:3] offset:1088
	;; [unrolled: 1-line block ×4, first 2 shown]
.LBB0_22:
	s_or_b64 exec, exec, s[14:15]
	v_mul_u32_u24_e32 v0, 6, v122
	v_lshlrev_b32_e32 v8, 4, v0
	s_waitcnt lgkmcnt(0)
	s_barrier
	global_load_dwordx4 v[4:7], v8, s[4:5] offset:2448
	global_load_dwordx4 v[10:13], v8, s[4:5] offset:2464
	;; [unrolled: 1-line block ×6, first 2 shown]
	v_mov_b32_e32 v9, 0
	s_mov_b64 s[2:3], 0x1fe0
	v_lshl_add_u64 v[0:1], s[4:5], 0, v[8:9]
	v_lshl_add_u64 v[0:1], v[0:1], 0, s[2:3]
	global_load_dwordx4 v[30:33], v[0:1], off offset:2448
	global_load_dwordx4 v[34:37], v[0:1], off offset:2464
	global_load_dwordx4 v[38:41], v[0:1], off offset:2480
	global_load_dwordx4 v[42:45], v[0:1], off offset:2496
	global_load_dwordx4 v[46:49], v[0:1], off offset:2512
	global_load_dwordx4 v[50:53], v[0:1], off offset:2528
	ds_read_b128 v[54:57], v219
	ds_read_b128 v[0:3], v123 offset:1360
	ds_read_b128 v[62:65], v123 offset:2720
	;; [unrolled: 1-line block ×3, first 2 shown]
	ds_read_b128 v[70:73], v60
	ds_read_b128 v[58:61], v61
	ds_read_b128 v[74:77], v123 offset:8160
	ds_read_b128 v[78:81], v123 offset:9520
	;; [unrolled: 1-line block ×8, first 2 shown]
	s_mov_b32 s8, 0xe976ee23
	s_mov_b32 s4, 0x37e14327
	;; [unrolled: 1-line block ×20, first 2 shown]
	s_waitcnt lgkmcnt(0)
	s_barrier
	s_waitcnt vmcnt(11)
	v_mul_f64 v[106:107], v[64:65], v[6:7]
	v_mul_f64 v[6:7], v[62:63], v[6:7]
	s_waitcnt vmcnt(10)
	v_mul_f64 v[108:109], v[72:73], v[12:13]
	v_mul_f64 v[12:13], v[70:71], v[12:13]
	;; [unrolled: 3-line block ×6, first 2 shown]
	v_fma_f64 v[62:63], v[62:63], v[4:5], -v[106:107]
	v_fmac_f64_e32 v[6:7], v[64:65], v[4:5]
	v_fma_f64 v[4:5], v[70:71], v[10:11], -v[108:109]
	v_fmac_f64_e32 v[12:13], v[72:73], v[10:11]
	v_fma_f64 v[10:11], v[74:75], v[14:15], -v[110:111]
	v_fmac_f64_e32 v[16:17], v[76:77], v[14:15]
	v_fma_f64 v[14:15], v[82:83], v[18:19], -v[112:113]
	v_fmac_f64_e32 v[20:21], v[84:85], v[18:19]
	v_fma_f64 v[18:19], v[90:91], v[22:23], -v[114:115]
	v_fmac_f64_e32 v[24:25], v[92:93], v[22:23]
	v_fma_f64 v[22:23], v[98:99], v[26:27], -v[116:117]
	v_fmac_f64_e32 v[28:29], v[100:101], v[26:27]
	s_waitcnt vmcnt(5)
	v_mul_f64 v[26:27], v[68:69], v[32:33]
	v_mul_f64 v[64:65], v[66:67], v[32:33]
	v_add_f64 v[82:83], v[62:63], v[22:23]
	v_fma_f64 v[66:67], v[66:67], v[30:31], -v[26:27]
	v_add_f64 v[26:27], v[4:5], v[18:19]
	v_add_f64 v[84:85], v[6:7], v[28:29]
	v_add_f64 v[6:7], v[6:7], -v[28:29]
	v_add_f64 v[28:29], v[12:13], v[24:25]
	v_add_f64 v[4:5], v[4:5], -v[18:19]
	v_add_f64 v[12:13], v[12:13], -v[24:25]
	v_add_f64 v[18:19], v[10:11], v[14:15]
	v_add_f64 v[24:25], v[16:17], v[20:21]
	v_add_f64 v[10:11], v[14:15], -v[10:11]
	v_add_f64 v[14:15], v[20:21], -v[16:17]
	v_add_f64 v[16:17], v[26:27], v[82:83]
	s_waitcnt vmcnt(4)
	v_mul_f64 v[32:33], v[60:61], v[36:37]
	v_mul_f64 v[36:37], v[58:59], v[36:37]
	s_waitcnt vmcnt(3)
	v_mul_f64 v[70:71], v[80:81], v[40:41]
	v_mul_f64 v[40:41], v[78:79], v[40:41]
	s_waitcnt vmcnt(2)
	v_mul_f64 v[72:73], v[88:89], v[44:45]
	v_mul_f64 v[44:45], v[86:87], v[44:45]
	s_waitcnt vmcnt(1)
	v_mul_f64 v[74:75], v[96:97], v[48:49]
	v_mul_f64 v[48:49], v[94:95], v[48:49]
	s_waitcnt vmcnt(0)
	v_mul_f64 v[76:77], v[104:105], v[52:53]
	v_mul_f64 v[52:53], v[102:103], v[52:53]
	v_add_f64 v[22:23], v[62:63], -v[22:23]
	v_add_f64 v[20:21], v[28:29], v[84:85]
	v_add_f64 v[16:17], v[18:19], v[16:17]
	v_fmac_f64_e32 v[64:65], v[68:69], v[30:31]
	v_fma_f64 v[58:59], v[58:59], v[34:35], -v[32:33]
	v_fmac_f64_e32 v[36:37], v[60:61], v[34:35]
	v_fma_f64 v[34:35], v[78:79], v[38:39], -v[70:71]
	;; [unrolled: 2-line block ×5, first 2 shown]
	v_fmac_f64_e32 v[52:53], v[104:105], v[50:51]
	v_add_f64 v[30:31], v[26:27], -v[82:83]
	v_add_f64 v[50:51], v[82:83], -v[18:19]
	;; [unrolled: 1-line block ×3, first 2 shown]
	v_add_f64 v[62:63], v[10:11], v[4:5]
	v_add_f64 v[68:69], v[14:15], v[12:13]
	v_add_f64 v[70:71], v[10:11], -v[4:5]
	v_add_f64 v[72:73], v[14:15], -v[12:13]
	;; [unrolled: 1-line block ×3, first 2 shown]
	v_add_f64 v[18:19], v[24:25], v[20:21]
	v_add_f64 v[4:5], v[54:55], v[16:17]
	v_add_f64 v[32:33], v[28:29], -v[84:85]
	v_add_f64 v[60:61], v[84:85], -v[24:25]
	;; [unrolled: 1-line block ×6, first 2 shown]
	v_add_f64 v[20:21], v[62:63], v[22:23]
	v_add_f64 v[22:23], v[68:69], v[6:7]
	v_add_f64 v[6:7], v[56:57], v[18:19]
	v_mul_f64 v[62:63], v[72:73], s[8:9]
	v_mov_b64_e32 v[72:73], v[4:5]
	v_mul_f64 v[24:25], v[50:51], s[4:5]
	v_mul_f64 v[50:51], v[60:61], s[4:5]
	;; [unrolled: 1-line block ×6, first 2 shown]
	v_fmac_f64_e32 v[72:73], s[10:11], v[16:17]
	v_mov_b64_e32 v[16:17], v[6:7]
	v_mul_f64 v[70:71], v[12:13], s[6:7]
	v_fmac_f64_e32 v[16:17], s[10:11], v[18:19]
	v_fma_f64 v[18:19], v[30:31], s[12:13], -v[54:55]
	v_fma_f64 v[54:55], v[32:33], s[12:13], -v[56:57]
	;; [unrolled: 1-line block ×3, first 2 shown]
	v_fmac_f64_e32 v[24:25], s[2:3], v[26:27]
	v_fma_f64 v[26:27], v[32:33], s[14:15], -v[50:51]
	v_fmac_f64_e32 v[50:51], s[2:3], v[28:29]
	v_fma_f64 v[28:29], v[74:75], s[6:7], -v[60:61]
	;; [unrolled: 2-line block ×3, first 2 shown]
	v_fma_f64 v[56:57], v[10:11], s[20:21], -v[68:69]
	v_fmac_f64_e32 v[62:63], s[16:17], v[14:15]
	v_fma_f64 v[68:69], v[14:15], s[20:21], -v[70:71]
	v_add_f64 v[70:71], v[24:25], v[72:73]
	v_add_f64 v[50:51], v[50:51], v[16:17]
	;; [unrolled: 1-line block ×6, first 2 shown]
	v_fmac_f64_e32 v[60:61], s[18:19], v[20:21]
	v_fmac_f64_e32 v[28:29], s[18:19], v[20:21]
	v_fmac_f64_e32 v[32:33], s[18:19], v[22:23]
	v_fmac_f64_e32 v[56:57], s[18:19], v[20:21]
	v_fmac_f64_e32 v[62:63], s[18:19], v[22:23]
	v_fmac_f64_e32 v[68:69], s[18:19], v[22:23]
	v_add_f64 v[12:13], v[50:51], -v[60:61]
	v_add_f64 v[16:17], v[72:73], -v[56:57]
	;; [unrolled: 1-line block ×3, first 2 shown]
	v_add_f64 v[20:21], v[28:29], v[54:55]
	v_add_f64 v[22:23], v[32:33], v[24:25]
	v_add_f64 v[24:25], v[54:55], -v[28:29]
	v_add_f64 v[28:29], v[56:57], v[72:73]
	v_add_f64 v[32:33], v[60:61], v[50:51]
	;; [unrolled: 1-line block ×6, first 2 shown]
	v_add_f64 v[42:43], v[58:59], -v[42:43]
	v_add_f64 v[36:37], v[36:37], -v[48:49]
	v_add_f64 v[48:49], v[34:35], v[38:39]
	v_add_f64 v[58:59], v[40:41], v[44:45]
	v_add_f64 v[34:35], v[38:39], -v[34:35]
	v_add_f64 v[38:39], v[44:45], -v[40:41]
	v_add_f64 v[40:41], v[56:57], v[50:51]
	v_add_f64 v[44:45], v[60:61], v[54:55]
	;; [unrolled: 1-line block ×3, first 2 shown]
	v_add_f64 v[46:47], v[66:67], -v[46:47]
	v_add_f64 v[52:53], v[64:65], -v[52:53]
	v_add_f64 v[44:45], v[58:59], v[44:45]
	v_add_f64 v[0:1], v[0:1], v[40:41]
	;; [unrolled: 1-line block ×4, first 2 shown]
	v_add_f64 v[26:27], v[30:31], -v[68:69]
	v_add_f64 v[30:31], v[70:71], -v[62:63]
	;; [unrolled: 1-line block ×8, first 2 shown]
	v_add_f64 v[66:67], v[34:35], v[42:43]
	v_add_f64 v[68:69], v[38:39], v[36:37]
	v_add_f64 v[70:71], v[34:35], -v[42:43]
	v_add_f64 v[72:73], v[38:39], -v[36:37]
	;; [unrolled: 1-line block ×4, first 2 shown]
	v_add_f64 v[2:3], v[2:3], v[44:45]
	v_mov_b64_e32 v[74:75], v[0:1]
	v_add_f64 v[34:35], v[46:47], -v[34:35]
	v_add_f64 v[38:39], v[52:53], -v[38:39]
	v_add_f64 v[46:47], v[66:67], v[46:47]
	v_add_f64 v[48:49], v[68:69], v[52:53]
	v_mul_f64 v[50:51], v[50:51], s[4:5]
	v_mul_f64 v[52:53], v[54:55], s[4:5]
	;; [unrolled: 1-line block ×8, first 2 shown]
	v_fmac_f64_e32 v[74:75], s[10:11], v[40:41]
	v_mov_b64_e32 v[40:41], v[2:3]
	v_fmac_f64_e32 v[40:41], s[10:11], v[44:45]
	v_fma_f64 v[44:45], s[2:3], v[56:57], v[50:51]
	v_fma_f64 v[54:55], v[62:63], s[12:13], -v[54:55]
	v_fma_f64 v[56:57], v[64:65], s[12:13], -v[58:59]
	;; [unrolled: 1-line block ×4, first 2 shown]
	v_fmac_f64_e32 v[52:53], s[2:3], v[60:61]
	v_fma_f64 v[60:61], s[16:17], v[34:35], v[66:67]
	v_fma_f64 v[62:63], v[42:43], s[6:7], -v[66:67]
	v_fma_f64 v[64:65], v[36:37], s[6:7], -v[68:69]
	v_fmac_f64_e32 v[68:69], s[16:17], v[38:39]
	v_fma_f64 v[66:67], v[34:35], s[20:21], -v[70:71]
	v_fma_f64 v[70:71], v[38:39], s[20:21], -v[72:73]
	v_add_f64 v[72:73], v[44:45], v[74:75]
	v_add_f64 v[76:77], v[52:53], v[40:41]
	v_add_f64 v[52:53], v[54:55], v[74:75]
	v_add_f64 v[54:55], v[56:57], v[40:41]
	v_add_f64 v[50:51], v[50:51], v[74:75]
	v_add_f64 v[56:57], v[58:59], v[40:41]
	v_fmac_f64_e32 v[60:61], s[18:19], v[46:47]
	v_fmac_f64_e32 v[68:69], s[18:19], v[48:49]
	;; [unrolled: 1-line block ×6, first 2 shown]
	v_add_f64 v[34:35], v[68:69], v[72:73]
	v_add_f64 v[36:37], v[76:77], -v[60:61]
	v_add_f64 v[38:39], v[70:71], v[50:51]
	v_add_f64 v[40:41], v[56:57], -v[66:67]
	v_add_f64 v[42:43], v[52:53], -v[64:65]
	v_add_f64 v[44:45], v[62:63], v[54:55]
	v_add_f64 v[46:47], v[64:65], v[52:53]
	v_add_f64 v[48:49], v[54:55], -v[62:63]
	v_add_f64 v[50:51], v[50:51], -v[70:71]
	v_add_f64 v[52:53], v[66:67], v[56:57]
	v_add_f64 v[54:55], v[72:73], -v[68:69]
	v_add_f64 v[56:57], v[60:61], v[76:77]
	ds_write_b128 v123, v[4:7]
	ds_write_b128 v123, v[10:13] offset:2720
	ds_write_b128 v123, v[14:17] offset:5440
	;; [unrolled: 1-line block ×13, first 2 shown]
	s_waitcnt lgkmcnt(0)
	s_barrier
	s_and_saveexec_b64 s[2:3], s[0:1]
	s_cbranch_execz .LBB0_24
; %bb.23:
	v_lshl_add_u32 v12, v122, 4, v218
	ds_read_b128 v[0:3], v12
	ds_read_b128 v[4:7], v12 offset:1360
	v_mov_b32_e32 v123, v9
	v_add_u32_e32 v8, 0x55, v122
	v_lshl_add_u64 v[10:11], v[122:123], 4, v[120:121]
	s_waitcnt lgkmcnt(1)
	global_store_dwordx4 v[10:11], v[0:3], off
	v_lshl_add_u64 v[10:11], v[8:9], 4, v[120:121]
	ds_read_b128 v[0:3], v12 offset:2720
	s_waitcnt lgkmcnt(1)
	global_store_dwordx4 v[10:11], v[4:7], off
	ds_read_b128 v[4:7], v12 offset:4080
	v_add_u32_e32 v8, 0xaa, v122
	v_lshl_add_u64 v[10:11], v[8:9], 4, v[120:121]
	v_add_u32_e32 v8, 0xff, v122
	s_waitcnt lgkmcnt(1)
	global_store_dwordx4 v[10:11], v[0:3], off
	v_lshl_add_u64 v[10:11], v[8:9], 4, v[120:121]
	ds_read_b128 v[0:3], v12 offset:5440
	s_waitcnt lgkmcnt(1)
	global_store_dwordx4 v[10:11], v[4:7], off
	ds_read_b128 v[4:7], v12 offset:6800
	v_add_u32_e32 v8, 0x154, v122
	v_lshl_add_u64 v[10:11], v[8:9], 4, v[120:121]
	v_add_u32_e32 v8, 0x1a9, v122
	s_waitcnt lgkmcnt(1)
	global_store_dwordx4 v[10:11], v[0:3], off
	v_lshl_add_u64 v[10:11], v[8:9], 4, v[120:121]
	ds_read_b128 v[0:3], v12 offset:8160
	s_waitcnt lgkmcnt(1)
	global_store_dwordx4 v[10:11], v[4:7], off
	ds_read_b128 v[4:7], v12 offset:9520
	v_add_u32_e32 v8, 0x1fe, v122
	v_lshl_add_u64 v[10:11], v[8:9], 4, v[120:121]
	v_add_u32_e32 v8, 0x253, v122
	s_waitcnt lgkmcnt(1)
	global_store_dwordx4 v[10:11], v[0:3], off
	v_lshl_add_u64 v[10:11], v[8:9], 4, v[120:121]
	ds_read_b128 v[0:3], v12 offset:10880
	s_waitcnt lgkmcnt(1)
	global_store_dwordx4 v[10:11], v[4:7], off
	ds_read_b128 v[4:7], v12 offset:12240
	v_add_u32_e32 v8, 0x2a8, v122
	v_lshl_add_u64 v[10:11], v[8:9], 4, v[120:121]
	v_add_u32_e32 v8, 0x2fd, v122
	s_waitcnt lgkmcnt(1)
	global_store_dwordx4 v[10:11], v[0:3], off
	v_lshl_add_u64 v[10:11], v[8:9], 4, v[120:121]
	ds_read_b128 v[0:3], v12 offset:13600
	s_waitcnt lgkmcnt(1)
	global_store_dwordx4 v[10:11], v[4:7], off
	ds_read_b128 v[4:7], v12 offset:14960
	v_add_u32_e32 v8, 0x352, v122
	v_lshl_add_u64 v[10:11], v[8:9], 4, v[120:121]
	v_add_u32_e32 v8, 0x3a7, v122
	s_waitcnt lgkmcnt(1)
	global_store_dwordx4 v[10:11], v[0:3], off
	v_lshl_add_u64 v[10:11], v[8:9], 4, v[120:121]
	ds_read_b128 v[0:3], v12 offset:16320
	s_waitcnt lgkmcnt(1)
	global_store_dwordx4 v[10:11], v[4:7], off
	ds_read_b128 v[4:7], v12 offset:17680
	v_add_u32_e32 v8, 0x3fc, v122
	v_lshl_add_u64 v[10:11], v[8:9], 4, v[120:121]
	v_add_u32_e32 v8, 0x451, v122
	s_waitcnt lgkmcnt(1)
	global_store_dwordx4 v[10:11], v[0:3], off
	s_nop 1
	v_lshl_add_u64 v[0:1], v[8:9], 4, v[120:121]
	s_waitcnt lgkmcnt(0)
	global_store_dwordx4 v[0:1], v[4:7], off
.LBB0_24:
	s_endpgm
	.section	.rodata,"a",@progbits
	.p2align	6, 0x0
	.amdhsa_kernel fft_rtc_fwd_len1190_factors_17_2_5_7_wgs_255_tpt_85_halfLds_dp_ip_CI_unitstride_sbrr_C2R_dirReg
		.amdhsa_group_segment_fixed_size 0
		.amdhsa_private_segment_fixed_size 0
		.amdhsa_kernarg_size 88
		.amdhsa_user_sgpr_count 2
		.amdhsa_user_sgpr_dispatch_ptr 0
		.amdhsa_user_sgpr_queue_ptr 0
		.amdhsa_user_sgpr_kernarg_segment_ptr 1
		.amdhsa_user_sgpr_dispatch_id 0
		.amdhsa_user_sgpr_kernarg_preload_length 0
		.amdhsa_user_sgpr_kernarg_preload_offset 0
		.amdhsa_user_sgpr_private_segment_size 0
		.amdhsa_uses_dynamic_stack 0
		.amdhsa_enable_private_segment 0
		.amdhsa_system_sgpr_workgroup_id_x 1
		.amdhsa_system_sgpr_workgroup_id_y 0
		.amdhsa_system_sgpr_workgroup_id_z 0
		.amdhsa_system_sgpr_workgroup_info 0
		.amdhsa_system_vgpr_workitem_id 0
		.amdhsa_next_free_vgpr 254
		.amdhsa_next_free_sgpr 56
		.amdhsa_accum_offset 256
		.amdhsa_reserve_vcc 1
		.amdhsa_float_round_mode_32 0
		.amdhsa_float_round_mode_16_64 0
		.amdhsa_float_denorm_mode_32 3
		.amdhsa_float_denorm_mode_16_64 3
		.amdhsa_dx10_clamp 1
		.amdhsa_ieee_mode 1
		.amdhsa_fp16_overflow 0
		.amdhsa_tg_split 0
		.amdhsa_exception_fp_ieee_invalid_op 0
		.amdhsa_exception_fp_denorm_src 0
		.amdhsa_exception_fp_ieee_div_zero 0
		.amdhsa_exception_fp_ieee_overflow 0
		.amdhsa_exception_fp_ieee_underflow 0
		.amdhsa_exception_fp_ieee_inexact 0
		.amdhsa_exception_int_div_zero 0
	.end_amdhsa_kernel
	.text
.Lfunc_end0:
	.size	fft_rtc_fwd_len1190_factors_17_2_5_7_wgs_255_tpt_85_halfLds_dp_ip_CI_unitstride_sbrr_C2R_dirReg, .Lfunc_end0-fft_rtc_fwd_len1190_factors_17_2_5_7_wgs_255_tpt_85_halfLds_dp_ip_CI_unitstride_sbrr_C2R_dirReg
                                        ; -- End function
	.section	.AMDGPU.csdata,"",@progbits
; Kernel info:
; codeLenInByte = 14960
; NumSgprs: 62
; NumVgprs: 254
; NumAgprs: 0
; TotalNumVgprs: 254
; ScratchSize: 0
; MemoryBound: 0
; FloatMode: 240
; IeeeMode: 1
; LDSByteSize: 0 bytes/workgroup (compile time only)
; SGPRBlocks: 7
; VGPRBlocks: 31
; NumSGPRsForWavesPerEU: 62
; NumVGPRsForWavesPerEU: 254
; AccumOffset: 256
; Occupancy: 2
; WaveLimiterHint : 1
; COMPUTE_PGM_RSRC2:SCRATCH_EN: 0
; COMPUTE_PGM_RSRC2:USER_SGPR: 2
; COMPUTE_PGM_RSRC2:TRAP_HANDLER: 0
; COMPUTE_PGM_RSRC2:TGID_X_EN: 1
; COMPUTE_PGM_RSRC2:TGID_Y_EN: 0
; COMPUTE_PGM_RSRC2:TGID_Z_EN: 0
; COMPUTE_PGM_RSRC2:TIDIG_COMP_CNT: 0
; COMPUTE_PGM_RSRC3_GFX90A:ACCUM_OFFSET: 63
; COMPUTE_PGM_RSRC3_GFX90A:TG_SPLIT: 0
	.text
	.p2alignl 6, 3212836864
	.fill 256, 4, 3212836864
	.type	__hip_cuid_19cd4d3cccf8b846,@object ; @__hip_cuid_19cd4d3cccf8b846
	.section	.bss,"aw",@nobits
	.globl	__hip_cuid_19cd4d3cccf8b846
__hip_cuid_19cd4d3cccf8b846:
	.byte	0                               ; 0x0
	.size	__hip_cuid_19cd4d3cccf8b846, 1

	.ident	"AMD clang version 19.0.0git (https://github.com/RadeonOpenCompute/llvm-project roc-6.4.0 25133 c7fe45cf4b819c5991fe208aaa96edf142730f1d)"
	.section	".note.GNU-stack","",@progbits
	.addrsig
	.addrsig_sym __hip_cuid_19cd4d3cccf8b846
	.amdgpu_metadata
---
amdhsa.kernels:
  - .agpr_count:     0
    .args:
      - .actual_access:  read_only
        .address_space:  global
        .offset:         0
        .size:           8
        .value_kind:     global_buffer
      - .offset:         8
        .size:           8
        .value_kind:     by_value
      - .actual_access:  read_only
        .address_space:  global
        .offset:         16
        .size:           8
        .value_kind:     global_buffer
      - .actual_access:  read_only
        .address_space:  global
        .offset:         24
        .size:           8
        .value_kind:     global_buffer
      - .offset:         32
        .size:           8
        .value_kind:     by_value
      - .actual_access:  read_only
        .address_space:  global
        .offset:         40
        .size:           8
        .value_kind:     global_buffer
      - .actual_access:  read_only
        .address_space:  global
        .offset:         48
        .size:           8
        .value_kind:     global_buffer
      - .offset:         56
        .size:           4
        .value_kind:     by_value
      - .actual_access:  read_only
        .address_space:  global
        .offset:         64
        .size:           8
        .value_kind:     global_buffer
      - .actual_access:  read_only
        .address_space:  global
        .offset:         72
        .size:           8
        .value_kind:     global_buffer
      - .address_space:  global
        .offset:         80
        .size:           8
        .value_kind:     global_buffer
    .group_segment_fixed_size: 0
    .kernarg_segment_align: 8
    .kernarg_segment_size: 88
    .language:       OpenCL C
    .language_version:
      - 2
      - 0
    .max_flat_workgroup_size: 255
    .name:           fft_rtc_fwd_len1190_factors_17_2_5_7_wgs_255_tpt_85_halfLds_dp_ip_CI_unitstride_sbrr_C2R_dirReg
    .private_segment_fixed_size: 0
    .sgpr_count:     62
    .sgpr_spill_count: 0
    .symbol:         fft_rtc_fwd_len1190_factors_17_2_5_7_wgs_255_tpt_85_halfLds_dp_ip_CI_unitstride_sbrr_C2R_dirReg.kd
    .uniform_work_group_size: 1
    .uses_dynamic_stack: false
    .vgpr_count:     254
    .vgpr_spill_count: 0
    .wavefront_size: 64
amdhsa.target:   amdgcn-amd-amdhsa--gfx950
amdhsa.version:
  - 1
  - 2
...

	.end_amdgpu_metadata
